;; amdgpu-corpus repo=ROCm/rocFFT kind=compiled arch=gfx1030 opt=O3
	.text
	.amdgcn_target "amdgcn-amd-amdhsa--gfx1030"
	.amdhsa_code_object_version 6
	.protected	fft_rtc_fwd_len3200_factors_10_10_4_4_2_wgs_160_tpt_160_halfLds_half_op_CI_CI_unitstride_sbrr_dirReg ; -- Begin function fft_rtc_fwd_len3200_factors_10_10_4_4_2_wgs_160_tpt_160_halfLds_half_op_CI_CI_unitstride_sbrr_dirReg
	.globl	fft_rtc_fwd_len3200_factors_10_10_4_4_2_wgs_160_tpt_160_halfLds_half_op_CI_CI_unitstride_sbrr_dirReg
	.p2align	8
	.type	fft_rtc_fwd_len3200_factors_10_10_4_4_2_wgs_160_tpt_160_halfLds_half_op_CI_CI_unitstride_sbrr_dirReg,@function
fft_rtc_fwd_len3200_factors_10_10_4_4_2_wgs_160_tpt_160_halfLds_half_op_CI_CI_unitstride_sbrr_dirReg: ; @fft_rtc_fwd_len3200_factors_10_10_4_4_2_wgs_160_tpt_160_halfLds_half_op_CI_CI_unitstride_sbrr_dirReg
; %bb.0:
	s_clause 0x2
	s_load_dwordx4 s[8:11], s[4:5], 0x0
	s_load_dwordx4 s[12:15], s[4:5], 0x58
	;; [unrolled: 1-line block ×3, first 2 shown]
	v_mul_u32_u24_e32 v2, 0x19a, v0
	v_mov_b32_e32 v1, 0
	v_mov_b32_e32 v8, 0
	;; [unrolled: 1-line block ×3, first 2 shown]
	v_add_nc_u32_sdwa v10, s6, v2 dst_sel:DWORD dst_unused:UNUSED_PAD src0_sel:DWORD src1_sel:WORD_1
	v_mov_b32_e32 v11, v1
	s_waitcnt lgkmcnt(0)
	v_cmp_lt_u64_e64 s0, s[10:11], 2
	s_and_b32 vcc_lo, exec_lo, s0
	s_cbranch_vccnz .LBB0_8
; %bb.1:
	s_load_dwordx2 s[0:1], s[4:5], 0x10
	v_mov_b32_e32 v8, 0
	v_mov_b32_e32 v9, 0
	s_add_u32 s2, s18, 8
	s_addc_u32 s3, s19, 0
	v_mov_b32_e32 v4, v8
	s_add_u32 s6, s16, 8
	v_mov_b32_e32 v5, v9
	s_addc_u32 s7, s17, 0
	s_mov_b64 s[22:23], 1
	s_waitcnt lgkmcnt(0)
	s_add_u32 s20, s0, 8
	s_addc_u32 s21, s1, 0
.LBB0_2:                                ; =>This Inner Loop Header: Depth=1
	s_load_dwordx2 s[24:25], s[20:21], 0x0
                                        ; implicit-def: $vgpr6_vgpr7
	s_mov_b32 s0, exec_lo
	s_waitcnt lgkmcnt(0)
	v_or_b32_e32 v2, s25, v11
	v_cmpx_ne_u64_e32 0, v[1:2]
	s_xor_b32 s1, exec_lo, s0
	s_cbranch_execz .LBB0_4
; %bb.3:                                ;   in Loop: Header=BB0_2 Depth=1
	v_cvt_f32_u32_e32 v2, s24
	v_cvt_f32_u32_e32 v3, s25
	s_sub_u32 s0, 0, s24
	s_subb_u32 s26, 0, s25
	v_fmac_f32_e32 v2, 0x4f800000, v3
	v_rcp_f32_e32 v2, v2
	v_mul_f32_e32 v2, 0x5f7ffffc, v2
	v_mul_f32_e32 v3, 0x2f800000, v2
	v_trunc_f32_e32 v3, v3
	v_fmac_f32_e32 v2, 0xcf800000, v3
	v_cvt_u32_f32_e32 v3, v3
	v_cvt_u32_f32_e32 v2, v2
	v_mul_lo_u32 v6, s0, v3
	v_mul_hi_u32 v7, s0, v2
	v_mul_lo_u32 v12, s26, v2
	v_add_nc_u32_e32 v6, v7, v6
	v_mul_lo_u32 v7, s0, v2
	v_add_nc_u32_e32 v6, v6, v12
	v_mul_hi_u32 v12, v2, v7
	v_mul_lo_u32 v13, v2, v6
	v_mul_hi_u32 v14, v2, v6
	v_mul_hi_u32 v15, v3, v7
	v_mul_lo_u32 v7, v3, v7
	v_mul_hi_u32 v16, v3, v6
	v_mul_lo_u32 v6, v3, v6
	v_add_co_u32 v12, vcc_lo, v12, v13
	v_add_co_ci_u32_e32 v13, vcc_lo, 0, v14, vcc_lo
	v_add_co_u32 v7, vcc_lo, v12, v7
	v_add_co_ci_u32_e32 v7, vcc_lo, v13, v15, vcc_lo
	v_add_co_ci_u32_e32 v12, vcc_lo, 0, v16, vcc_lo
	v_add_co_u32 v6, vcc_lo, v7, v6
	v_add_co_ci_u32_e32 v7, vcc_lo, 0, v12, vcc_lo
	v_add_co_u32 v2, vcc_lo, v2, v6
	v_add_co_ci_u32_e32 v3, vcc_lo, v3, v7, vcc_lo
	v_mul_hi_u32 v6, s0, v2
	v_mul_lo_u32 v12, s26, v2
	v_mul_lo_u32 v7, s0, v3
	v_add_nc_u32_e32 v6, v6, v7
	v_mul_lo_u32 v7, s0, v2
	v_add_nc_u32_e32 v6, v6, v12
	v_mul_hi_u32 v12, v2, v7
	v_mul_lo_u32 v13, v2, v6
	v_mul_hi_u32 v14, v2, v6
	v_mul_hi_u32 v15, v3, v7
	v_mul_lo_u32 v7, v3, v7
	v_mul_hi_u32 v16, v3, v6
	v_mul_lo_u32 v6, v3, v6
	v_add_co_u32 v12, vcc_lo, v12, v13
	v_add_co_ci_u32_e32 v13, vcc_lo, 0, v14, vcc_lo
	v_add_co_u32 v7, vcc_lo, v12, v7
	v_add_co_ci_u32_e32 v7, vcc_lo, v13, v15, vcc_lo
	v_add_co_ci_u32_e32 v12, vcc_lo, 0, v16, vcc_lo
	v_add_co_u32 v6, vcc_lo, v7, v6
	v_add_co_ci_u32_e32 v7, vcc_lo, 0, v12, vcc_lo
	v_add_co_u32 v6, vcc_lo, v2, v6
	v_add_co_ci_u32_e32 v12, vcc_lo, v3, v7, vcc_lo
	v_mul_hi_u32 v14, v10, v6
	v_mad_u64_u32 v[6:7], null, v11, v6, 0
	v_mad_u64_u32 v[2:3], null, v10, v12, 0
	;; [unrolled: 1-line block ×3, first 2 shown]
	v_add_co_u32 v2, vcc_lo, v14, v2
	v_add_co_ci_u32_e32 v3, vcc_lo, 0, v3, vcc_lo
	v_add_co_u32 v2, vcc_lo, v2, v6
	v_add_co_ci_u32_e32 v2, vcc_lo, v3, v7, vcc_lo
	v_add_co_ci_u32_e32 v3, vcc_lo, 0, v13, vcc_lo
	v_add_co_u32 v6, vcc_lo, v2, v12
	v_add_co_ci_u32_e32 v7, vcc_lo, 0, v3, vcc_lo
	v_mul_lo_u32 v12, s25, v6
	v_mad_u64_u32 v[2:3], null, s24, v6, 0
	v_mul_lo_u32 v13, s24, v7
	v_sub_co_u32 v2, vcc_lo, v10, v2
	v_add3_u32 v3, v3, v13, v12
	v_sub_nc_u32_e32 v12, v11, v3
	v_subrev_co_ci_u32_e64 v12, s0, s25, v12, vcc_lo
	v_add_co_u32 v13, s0, v6, 2
	v_add_co_ci_u32_e64 v14, s0, 0, v7, s0
	v_sub_co_u32 v15, s0, v2, s24
	v_sub_co_ci_u32_e32 v3, vcc_lo, v11, v3, vcc_lo
	v_subrev_co_ci_u32_e64 v12, s0, 0, v12, s0
	v_cmp_le_u32_e32 vcc_lo, s24, v15
	v_cmp_eq_u32_e64 s0, s25, v3
	v_cndmask_b32_e64 v15, 0, -1, vcc_lo
	v_cmp_le_u32_e32 vcc_lo, s25, v12
	v_cndmask_b32_e64 v16, 0, -1, vcc_lo
	v_cmp_le_u32_e32 vcc_lo, s24, v2
	;; [unrolled: 2-line block ×3, first 2 shown]
	v_cndmask_b32_e64 v17, 0, -1, vcc_lo
	v_cmp_eq_u32_e32 vcc_lo, s25, v12
	v_cndmask_b32_e64 v2, v17, v2, s0
	v_cndmask_b32_e32 v12, v16, v15, vcc_lo
	v_add_co_u32 v15, vcc_lo, v6, 1
	v_add_co_ci_u32_e32 v16, vcc_lo, 0, v7, vcc_lo
	v_cmp_ne_u32_e32 vcc_lo, 0, v12
	v_cndmask_b32_e32 v3, v16, v14, vcc_lo
	v_cndmask_b32_e32 v12, v15, v13, vcc_lo
	v_cmp_ne_u32_e32 vcc_lo, 0, v2
	v_cndmask_b32_e32 v7, v7, v3, vcc_lo
	v_cndmask_b32_e32 v6, v6, v12, vcc_lo
.LBB0_4:                                ;   in Loop: Header=BB0_2 Depth=1
	s_andn2_saveexec_b32 s0, s1
	s_cbranch_execz .LBB0_6
; %bb.5:                                ;   in Loop: Header=BB0_2 Depth=1
	v_cvt_f32_u32_e32 v2, s24
	s_sub_i32 s1, 0, s24
	v_rcp_iflag_f32_e32 v2, v2
	v_mul_f32_e32 v2, 0x4f7ffffe, v2
	v_cvt_u32_f32_e32 v2, v2
	v_mul_lo_u32 v3, s1, v2
	v_mul_hi_u32 v3, v2, v3
	v_add_nc_u32_e32 v2, v2, v3
	v_mul_hi_u32 v2, v10, v2
	v_mul_lo_u32 v3, v2, s24
	v_add_nc_u32_e32 v6, 1, v2
	v_sub_nc_u32_e32 v3, v10, v3
	v_subrev_nc_u32_e32 v7, s24, v3
	v_cmp_le_u32_e32 vcc_lo, s24, v3
	v_cndmask_b32_e32 v3, v3, v7, vcc_lo
	v_cndmask_b32_e32 v2, v2, v6, vcc_lo
	v_mov_b32_e32 v7, v1
	v_cmp_le_u32_e32 vcc_lo, s24, v3
	v_add_nc_u32_e32 v6, 1, v2
	v_cndmask_b32_e32 v6, v2, v6, vcc_lo
.LBB0_6:                                ;   in Loop: Header=BB0_2 Depth=1
	s_or_b32 exec_lo, exec_lo, s0
	v_mul_lo_u32 v12, v7, s24
	v_mul_lo_u32 v13, v6, s25
	s_load_dwordx2 s[0:1], s[6:7], 0x0
	v_mad_u64_u32 v[2:3], null, v6, s24, 0
	s_load_dwordx2 s[24:25], s[2:3], 0x0
	s_add_u32 s22, s22, 1
	s_addc_u32 s23, s23, 0
	s_add_u32 s2, s2, 8
	s_addc_u32 s3, s3, 0
	s_add_u32 s6, s6, 8
	v_add3_u32 v3, v3, v13, v12
	v_sub_co_u32 v2, vcc_lo, v10, v2
	s_addc_u32 s7, s7, 0
	s_add_u32 s20, s20, 8
	v_sub_co_ci_u32_e32 v3, vcc_lo, v11, v3, vcc_lo
	s_addc_u32 s21, s21, 0
	s_waitcnt lgkmcnt(0)
	v_mul_lo_u32 v10, s0, v3
	v_mul_lo_u32 v11, s1, v2
	v_mad_u64_u32 v[8:9], null, s0, v2, v[8:9]
	v_mul_lo_u32 v3, s24, v3
	v_mul_lo_u32 v12, s25, v2
	v_mad_u64_u32 v[4:5], null, s24, v2, v[4:5]
	v_cmp_ge_u64_e64 s0, s[22:23], s[10:11]
	v_add3_u32 v9, v11, v9, v10
	v_add3_u32 v5, v12, v5, v3
	s_and_b32 vcc_lo, exec_lo, s0
	s_cbranch_vccnz .LBB0_9
; %bb.7:                                ;   in Loop: Header=BB0_2 Depth=1
	v_mov_b32_e32 v11, v7
	v_mov_b32_e32 v10, v6
	s_branch .LBB0_2
.LBB0_8:
	v_mov_b32_e32 v4, v8
	v_mov_b32_e32 v6, v10
	;; [unrolled: 1-line block ×4, first 2 shown]
.LBB0_9:
	s_load_dwordx2 s[0:1], s[4:5], 0x28
	v_mul_hi_u32 v39, 0x199999a, v0
	s_lshl_b64 s[4:5], s[10:11], 3
                                        ; implicit-def: $vgpr1
                                        ; implicit-def: $vgpr3
	s_add_u32 s2, s18, s4
	s_addc_u32 s3, s19, s5
	s_waitcnt lgkmcnt(0)
	v_cmp_gt_u64_e32 vcc_lo, s[0:1], v[6:7]
	v_cmp_le_u64_e64 s0, s[0:1], v[6:7]
	s_and_saveexec_b32 s1, s0
	s_xor_b32 s0, exec_lo, s1
; %bb.10:
	v_mul_u32_u24_e32 v1, 0xa0, v39
                                        ; implicit-def: $vgpr39
                                        ; implicit-def: $vgpr8_vgpr9
	v_sub_nc_u32_e32 v1, v0, v1
                                        ; implicit-def: $vgpr0
	v_or_b32_e32 v3, 0x500, v1
; %bb.11:
	s_or_saveexec_b32 s1, s0
                                        ; implicit-def: $vgpr13
                                        ; implicit-def: $vgpr2
                                        ; implicit-def: $vgpr33
                                        ; implicit-def: $vgpr34
                                        ; implicit-def: $vgpr35
                                        ; implicit-def: $vgpr31
                                        ; implicit-def: $vgpr37
                                        ; implicit-def: $vgpr32
                                        ; implicit-def: $vgpr38
                                        ; implicit-def: $vgpr36
                                        ; implicit-def: $vgpr11
                                        ; implicit-def: $vgpr10
                                        ; implicit-def: $vgpr20
                                        ; implicit-def: $vgpr19
                                        ; implicit-def: $vgpr21
                                        ; implicit-def: $vgpr24
                                        ; implicit-def: $vgpr22
                                        ; implicit-def: $vgpr25
                                        ; implicit-def: $vgpr23
                                        ; implicit-def: $vgpr26
                                        ; implicit-def: $vgpr30
                                        ; implicit-def: $vgpr27
                                        ; implicit-def: $vgpr29
                                        ; implicit-def: $vgpr28
                                        ; implicit-def: $vgpr14
                                        ; implicit-def: $vgpr16
                                        ; implicit-def: $vgpr17
                                        ; implicit-def: $vgpr15
                                        ; implicit-def: $vgpr18
                                        ; implicit-def: $vgpr12
	s_xor_b32 exec_lo, exec_lo, s1
	s_cbranch_execz .LBB0_13
; %bb.12:
	s_add_u32 s4, s16, s4
	s_addc_u32 s5, s17, s5
	v_mul_u32_u24_e32 v11, 0xa0, v39
	s_load_dwordx2 s[4:5], s[4:5], 0x0
	v_lshlrev_b64 v[8:9], 2, v[8:9]
	s_waitcnt lgkmcnt(0)
	v_mul_lo_u32 v1, s5, v6
	v_mul_lo_u32 v10, s4, v7
	v_mad_u64_u32 v[2:3], null, s4, v6, 0
	v_add3_u32 v3, v3, v10, v1
	v_sub_nc_u32_e32 v1, v0, v11
	v_lshlrev_b64 v[10:11], 2, v[2:3]
	v_or_b32_e32 v3, 0x500, v1
	v_lshlrev_b32_e32 v0, 2, v1
	v_add_co_u32 v2, s0, s12, v10
	v_add_co_ci_u32_e64 v10, s0, s13, v11, s0
	v_lshlrev_b32_e32 v11, 2, v3
	v_add_co_u32 v2, s0, v2, v8
	v_add_co_ci_u32_e64 v13, s0, v10, v9, s0
	v_or_b32_e32 v12, 0x2800, v0
	v_add_co_u32 v8, s0, v2, v0
	v_add_co_ci_u32_e64 v9, s0, 0, v13, s0
	v_add_co_u32 v10, s0, v2, v11
	v_add_co_ci_u32_e64 v11, s0, 0, v13, s0
	;; [unrolled: 2-line block ×6, first 2 shown]
	global_load_dword v2, v[8:9], off
	v_add_co_u32 v22, s0, 0x2800, v8
	v_add_co_ci_u32_e64 v23, s0, 0, v9, s0
	v_add_co_u32 v37, s0, 0x1000, v8
	v_add_co_ci_u32_e64 v38, s0, 0, v9, s0
	s_clause 0x12
	global_load_dword v32, v[16:17], off offset:1536
	global_load_dword v36, v[12:13], off
	global_load_dword v31, v[10:11], off
	global_load_dword v27, v[14:15], off offset:1792
	global_load_dword v19, v[14:15], off offset:1152
	;; [unrolled: 1-line block ×16, first 2 shown]
	s_waitcnt vmcnt(18)
	v_lshrrev_b32_e32 v37, 16, v32
	s_waitcnt vmcnt(17)
	v_lshrrev_b32_e32 v38, 16, v36
	;; [unrolled: 2-line block ×6, first 2 shown]
	v_lshrrev_b32_e32 v13, 16, v2
	s_waitcnt vmcnt(9)
	v_lshrrev_b32_e32 v21, 16, v24
	s_waitcnt vmcnt(6)
	;; [unrolled: 2-line block ×3, first 2 shown]
	v_lshrrev_b32_e32 v23, 16, v26
.LBB0_13:
	s_or_b32 exec_lo, exec_lo, s1
	v_add_f16_e32 v0, v31, v32
	v_sub_f16_e32 v9, v33, v38
	v_add_f16_e32 v8, v2, v34
	v_sub_f16_e32 v39, v35, v37
	v_sub_f16_e32 v40, v34, v31
	v_fma_f16 v0, -0.5, v0, v2
	v_sub_f16_e32 v41, v36, v32
	v_add_f16_e32 v42, v34, v36
	v_add_f16_e32 v8, v8, v31
	v_sub_f16_e32 v44, v31, v34
	v_fmamk_f16 v43, v9, 0x3b9c, v0
	v_fmac_f16_e32 v0, 0xbb9c, v9
	v_add_f16_e32 v40, v40, v41
	v_fmac_f16_e32 v2, -0.5, v42
	v_sub_f16_e32 v41, v32, v36
	v_fmac_f16_e32 v43, 0x38b4, v39
	v_fmac_f16_e32 v0, 0xb8b4, v39
	v_add_f16_e32 v45, v35, v37
	v_add_f16_e32 v8, v8, v32
	v_fmamk_f16 v42, v39, 0xbb9c, v2
	v_fmac_f16_e32 v43, 0x34f2, v40
	v_add_f16_e32 v41, v44, v41
	v_fmac_f16_e32 v2, 0x3b9c, v39
	v_add_f16_e32 v39, v13, v33
	v_fma_f16 v44, -0.5, v45, v13
	v_sub_f16_e32 v34, v34, v36
	v_fmac_f16_e32 v0, 0x34f2, v40
	v_add_f16_e32 v40, v33, v38
	v_add_f16_e32 v8, v8, v36
	v_fmac_f16_e32 v42, 0x38b4, v9
	v_fmac_f16_e32 v2, 0xb8b4, v9
	v_add_f16_e32 v9, v39, v35
	v_fmamk_f16 v36, v34, 0xbb9c, v44
	v_sub_f16_e32 v31, v31, v32
	v_sub_f16_e32 v32, v33, v35
	;; [unrolled: 1-line block ×3, first 2 shown]
	v_fmac_f16_e32 v44, 0x3b9c, v34
	v_fmac_f16_e32 v13, -0.5, v40
	v_sub_f16_e32 v33, v35, v33
	v_sub_f16_e32 v35, v37, v38
	v_add_f16_e32 v9, v9, v37
	v_fmac_f16_e32 v36, 0xb8b4, v31
	v_add_f16_e32 v32, v32, v39
	v_fmac_f16_e32 v44, 0x38b4, v31
	v_fmamk_f16 v37, v31, 0x3b9c, v13
	v_add_f16_e32 v33, v33, v35
	v_fmac_f16_e32 v13, 0xbb9c, v31
	v_fmac_f16_e32 v36, 0x34f2, v32
	;; [unrolled: 1-line block ×4, first 2 shown]
	v_mul_f16_e32 v32, 0x34f2, v33
	v_fmac_f16_e32 v13, 0x38b4, v34
	s_waitcnt vmcnt(4)
	v_pk_add_f16 v33, v27, v30 neg_lo:[0,1] neg_hi:[0,1]
	s_waitcnt vmcnt(3)
	v_pk_add_f16 v34, v28, v29 neg_lo:[0,1] neg_hi:[0,1]
	v_add_f16_e32 v9, v9, v38
	v_add_f16_e32 v35, v30, v29
	v_pk_add_f16 v38, v27, v28 neg_lo:[0,1] neg_hi:[0,1]
	v_pk_add_f16 v39, v30, v29 neg_lo:[0,1] neg_hi:[0,1]
	v_pk_add_f16 v33, v33, v34
	v_lshrrev_b32_e32 v34, 16, v14
	v_add_f16_sdwa v40, v30, v29 dst_sel:DWORD dst_unused:UNUSED_PAD src0_sel:WORD_1 src1_sel:WORD_1
	v_fmac_f16_e32 v42, 0x34f2, v41
	v_fmac_f16_e32 v2, 0x34f2, v41
	v_fma_f16 v35, -0.5, v35, v14
	v_lshrrev_b32_e32 v41, 16, v38
	v_bfi_b32 v33, 0xffff, v33, v39
	v_add_f16_sdwa v45, v34, v27 dst_sel:DWORD dst_unused:UNUSED_PAD src0_sel:DWORD src1_sel:WORD_1
	v_fmac_f16_e32 v34, -0.5, v40
	v_add_f16_e32 v31, v14, v27
	v_fmamk_f16 v40, v41, 0x3b9c, v35
	v_pk_mul_f16 v33, 0x38b434f2, v33
	v_fmac_f16_e32 v35, 0xbb9c, v41
	v_fmamk_f16 v41, v38, 0xbb9c, v34
	v_sub_f16_sdwa v46, v27, v30 dst_sel:DWORD dst_unused:UNUSED_PAD src0_sel:WORD_1 src1_sel:WORD_1
	v_sub_f16_sdwa v47, v28, v29 dst_sel:DWORD dst_unused:UNUSED_PAD src0_sel:WORD_1 src1_sel:WORD_1
	v_add_f16_e32 v31, v31, v30
	v_add_f16_sdwa v40, v33, v40 dst_sel:DWORD dst_unused:UNUSED_PAD src0_sel:WORD_1 src1_sel:DWORD
	v_sub_f16_sdwa v35, v35, v33 dst_sel:DWORD dst_unused:UNUSED_PAD src0_sel:DWORD src1_sel:WORD_1
	v_fmac_f16_e32 v41, 0xb8b4, v39
	v_add_f16_e32 v46, v46, v47
	v_fmac_f16_e32 v34, 0x3b9c, v38
	v_add_f16_e32 v31, v31, v29
	v_add_f16_e32 v40, v33, v40
	;; [unrolled: 1-line block ×3, first 2 shown]
	v_add_f16_sdwa v35, v45, v30 dst_sel:DWORD dst_unused:UNUSED_PAD src0_sel:DWORD src1_sel:WORD_1
	v_fmac_f16_e32 v41, 0x34f2, v46
	v_fmac_f16_e32 v34, 0x38b4, v39
	v_add_f16_e32 v31, v31, v28
	v_pk_add_f16 v45, v27, v28
	v_pk_add_f16 v27, v30, v27 neg_lo:[0,1] neg_hi:[0,1]
	v_add_f16_sdwa v30, v35, v29 dst_sel:DWORD dst_unused:UNUSED_PAD src0_sel:DWORD src1_sel:WORD_1
	v_mul_f16_e32 v35, 0x38b4, v41
	v_fmac_f16_e32 v34, 0x34f2, v46
	v_mul_f16_e32 v46, 0x3a79, v33
	v_add_f16_e32 v48, v24, v25
	v_pk_add_f16 v29, v29, v28 neg_lo:[0,1] neg_hi:[0,1]
	v_add_f16_sdwa v28, v30, v28 dst_sel:DWORD dst_unused:UNUSED_PAD src0_sel:DWORD src1_sel:WORD_1
	v_fmac_f16_e32 v35, 0x3a79, v40
	v_mul_f16_e32 v30, 0xb8b4, v40
	v_mul_f16_e32 v40, 0x3a79, v34
	v_fma_f16 v34, v34, 0x38b4, -v46
	v_add_f16_e32 v46, v8, v31
	v_sub_f16_e32 v8, v8, v31
	v_add_f16_e32 v31, v10, v19
	v_fma_f16 v48, -0.5, v48, v10
	v_sub_f16_e32 v51, v20, v23
	v_add_f16_e32 v47, v43, v35
	v_fmac_f16_e32 v30, 0x3a79, v41
	v_fma_f16 v33, v33, 0xb8b4, -v40
	v_add_f16_e32 v40, v0, v34
	v_add_f16_e32 v41, v9, v28
	v_sub_f16_e32 v35, v43, v35
	v_sub_f16_e32 v34, v0, v34
	;; [unrolled: 1-line block ×3, first 2 shown]
	v_add_f16_e32 v0, v31, v24
	v_fmamk_f16 v9, v51, 0x3b9c, v48
	v_sub_f16_e32 v31, v21, v22
	v_sub_f16_e32 v43, v19, v24
	;; [unrolled: 1-line block ×3, first 2 shown]
	v_fmac_f16_e32 v48, 0xbb9c, v51
	v_add_f16_e32 v53, v19, v26
	v_add_f16_e32 v50, v44, v33
	v_fmac_f16_e32 v9, 0x38b4, v31
	v_add_f16_e32 v43, v43, v52
	v_fmac_f16_e32 v48, 0xb8b4, v31
	v_fmac_f16_e32 v10, -0.5, v53
	v_sub_f16_e32 v33, v44, v33
	v_add_f16_e32 v44, v11, v20
	v_add_f16_e32 v0, v0, v25
	v_fmac_f16_e32 v9, 0x34f2, v43
	v_fmac_f16_e32 v48, 0x34f2, v43
	v_fmamk_f16 v43, v31, 0xbb9c, v10
	v_add_f16_e32 v52, v21, v22
	v_sub_f16_e32 v53, v24, v19
	v_sub_f16_e32 v54, v25, v26
	v_fmac_f16_e32 v10, 0x3b9c, v31
	v_add_f16_e32 v31, v44, v21
	v_add_f16_e32 v0, v0, v26
	v_fma_f16 v44, -0.5, v52, v11
	v_sub_f16_e32 v19, v19, v26
	v_fmac_f16_e32 v43, 0x38b4, v51
	v_add_f16_e32 v26, v53, v54
	v_fmac_f16_e32 v10, 0xb8b4, v51
	v_add_f16_e32 v31, v31, v22
	v_fmamk_f16 v51, v19, 0xbb9c, v44
	v_sub_f16_e32 v24, v24, v25
	v_fmac_f16_e32 v43, 0x34f2, v26
	v_fmac_f16_e32 v10, 0x34f2, v26
	v_add_f16_e32 v25, v31, v23
	v_add_f16_e32 v26, v20, v23
	v_sub_f16_e32 v31, v20, v21
	v_sub_f16_e32 v52, v23, v22
	v_fmac_f16_e32 v44, 0x3b9c, v19
	v_fmac_f16_e32 v51, 0xb8b4, v24
	v_fmac_f16_e32 v11, -0.5, v26
	v_sub_f16_e32 v20, v21, v20
	v_sub_f16_e32 v21, v22, v23
	v_add_f16_e32 v22, v31, v52
	v_fmac_f16_e32 v44, 0x38b4, v24
	v_fmamk_f16 v23, v24, 0x3b9c, v11
	s_waitcnt vmcnt(1)
	v_add_f16_e32 v26, v12, v17
	v_fmac_f16_e32 v11, 0xbb9c, v24
	v_fmac_f16_e32 v51, 0x34f2, v22
	;; [unrolled: 1-line block ×3, first 2 shown]
	v_pk_add_f16 v22, v17, v16 neg_lo:[0,1] neg_hi:[0,1]
	s_waitcnt vmcnt(0)
	v_pk_add_f16 v24, v18, v15 neg_lo:[0,1] neg_hi:[0,1]
	v_add_f16_e32 v20, v20, v21
	v_add_f16_e32 v21, v26, v16
	;; [unrolled: 1-line block ×3, first 2 shown]
	v_pk_add_f16 v31, v17, v18 neg_lo:[0,1] neg_hi:[0,1]
	v_pk_add_f16 v52, v16, v15 neg_lo:[0,1] neg_hi:[0,1]
	v_pk_add_f16 v22, v22, v24
	v_add_f16_e32 v21, v21, v15
	v_lshrrev_b32_e32 v24, 16, v12
	v_add_f16_sdwa v53, v16, v15 dst_sel:DWORD dst_unused:UNUSED_PAD src0_sel:WORD_1 src1_sel:WORD_1
	v_fma_f16 v26, -0.5, v26, v12
	v_lshrrev_b32_e32 v54, 16, v31
	v_bfi_b32 v22, 0xffff, v22, v52
	v_fmac_f16_e32 v23, 0xb8b4, v19
	v_add_f16_sdwa v55, v24, v17 dst_sel:DWORD dst_unused:UNUSED_PAD src0_sel:DWORD src1_sel:WORD_1
	v_fmac_f16_e32 v24, -0.5, v53
	v_fmac_f16_e32 v11, 0x38b4, v19
	v_add_f16_e32 v19, v21, v18
	v_fmamk_f16 v21, v54, 0x3b9c, v26
	v_pk_mul_f16 v22, 0x38b434f2, v22
	v_fmac_f16_e32 v26, 0xbb9c, v54
	v_fmamk_f16 v53, v31, 0xbb9c, v24
	v_sub_f16_sdwa v56, v17, v16 dst_sel:DWORD dst_unused:UNUSED_PAD src0_sel:WORD_1 src1_sel:WORD_1
	v_sub_f16_sdwa v57, v18, v15 dst_sel:DWORD dst_unused:UNUSED_PAD src0_sel:WORD_1 src1_sel:WORD_1
	v_add_f16_sdwa v21, v22, v21 dst_sel:DWORD dst_unused:UNUSED_PAD src0_sel:WORD_1 src1_sel:DWORD
	v_fmac_f16_e32 v24, 0x3b9c, v31
	v_sub_f16_sdwa v26, v26, v22 dst_sel:DWORD dst_unused:UNUSED_PAD src0_sel:DWORD src1_sel:WORD_1
	v_add_f16_sdwa v55, v55, v16 dst_sel:DWORD dst_unused:UNUSED_PAD src0_sel:DWORD src1_sel:WORD_1
	v_fmac_f16_e32 v53, 0xb8b4, v52
	v_add_f16_e32 v54, v56, v57
	v_add_f16_e32 v21, v22, v21
	v_fmac_f16_e32 v24, 0x38b4, v52
	v_add_f16_e32 v22, v22, v26
	v_add_f16_sdwa v55, v55, v15 dst_sel:DWORD dst_unused:UNUSED_PAD src0_sel:DWORD src1_sel:WORD_1
	v_pk_fma_f16 v14, v45, 0.5, v14 op_sel_hi:[1,0,1] neg_lo:[1,0,0] neg_hi:[1,0,0]
	v_pk_mul_f16 v39, 0x3b9c, v39 op_sel_hi:[0,1]
	v_fmac_f16_e32 v53, 0x34f2, v54
	v_pk_add_f16 v26, v17, v18
	v_fmac_f16_e32 v24, 0x34f2, v54
	v_mul_f16_e32 v56, 0x3a79, v22
	v_pk_add_f16 v16, v16, v17 neg_lo:[0,1] neg_hi:[0,1]
	v_add_f16_sdwa v17, v55, v18 dst_sel:DWORD dst_unused:UNUSED_PAD src0_sel:DWORD src1_sel:WORD_1
	v_add_f16_e32 v55, v0, v19
	v_sub_f16_e32 v19, v0, v19
	v_pk_mul_f16 v0, 0x38b4, v38 op_sel_hi:[0,1]
	v_pk_add_f16 v38, v14, v39 op_sel:[0,1] op_sel_hi:[1,0] neg_lo:[0,1] neg_hi:[0,1]
	v_pk_add_f16 v14, v39, v14 op_sel:[1,0] op_sel_hi:[0,1]
	v_mul_f16_e32 v54, 0x38b4, v53
	v_pk_add_f16 v15, v15, v18 neg_lo:[0,1] neg_hi:[0,1]
	v_fma_f16 v18, v24, 0x38b4, -v56
	v_mul_f16_e32 v24, 0x3a79, v24
	v_pk_add_f16 v27, v27, v29
	v_pk_add_f16 v29, v0, v38 op_sel:[1,0] op_sel_hi:[0,1]
	v_pk_add_f16 v0, v14, v0 op_sel:[0,1] op_sel_hi:[1,0] neg_lo:[0,1] neg_hi:[0,1]
	v_fmac_f16_e32 v54, 0x3a79, v21
	v_mul_f16_e32 v21, 0xb8b4, v21
	v_fma_f16 v22, v22, 0xb8b4, -v24
	v_add_f16_e32 v24, v25, v17
	v_mul_u32_u24_e32 v39, 10, v1
	v_sub_f16_e32 v17, v25, v17
	v_pk_fma_f16 v25, 0x34f2, v27, v29 op_sel_hi:[0,1,1]
	v_pk_fma_f16 v27, 0x34f2, v27, v0 op_sel_hi:[0,1,1]
	v_add_f16_e32 v57, v48, v18
	v_fmac_f16_e32 v21, 0x3a79, v53
	v_add_f16_e32 v53, v44, v22
	v_sub_f16_e32 v14, v48, v18
	v_lshl_add_u32 v18, v39, 1, 0
	v_sub_f16_e32 v22, v44, v22
	v_mul_f16_e32 v39, 0x34f2, v25
	v_lshrrev_b32_e32 v44, 16, v27
	v_add_f16_e32 v56, v9, v54
	v_sub_f16_e32 v9, v9, v54
	v_mul_f16_e32 v48, 0x34f2, v27
	v_lshrrev_b32_e32 v54, 16, v25
	v_pk_mul_f16 v25, 0x34f23b9c, v25
	v_fmac_f16_e32 v39, 0x3b9c, v44
	v_pk_fma_f16 v12, v26, 0.5, v12 op_sel_hi:[1,0,1] neg_lo:[1,0,0] neg_hi:[1,0,0]
	v_pk_mul_f16 v26, 0x3b9c, v52 op_sel_hi:[0,1]
	v_pack_b32_f16 v37, v13, v37
	v_fma_f16 v44, v54, 0x3b9c, -v48
	v_pk_fma_f16 v25, 0x34f2bb9c, v27, v25 op_sel:[0,0,1] op_sel_hi:[1,1,0] neg_lo:[0,0,1] neg_hi:[0,0,1]
	v_add_f16_e32 v27, v42, v39
	v_sub_f16_e32 v39, v42, v39
	v_pk_mul_f16 v31, 0x38b4, v31 op_sel_hi:[0,1]
	v_pk_add_f16 v42, v12, v26 op_sel:[0,1] op_sel_hi:[1,0] neg_lo:[0,1] neg_hi:[0,1]
	v_pk_add_f16 v12, v26, v12 op_sel:[1,0] op_sel_hi:[0,1]
	v_pk_add_f16 v32, v32, v37 op_sel_hi:[0,1]
	v_add_f16_e32 v37, v2, v44
	v_pk_add_f16 v15, v16, v15
	v_pk_add_f16 v16, v31, v42 op_sel:[1,0] op_sel_hi:[0,1]
	v_pk_add_f16 v12, v12, v31 op_sel:[0,1] op_sel_hi:[1,0] neg_lo:[0,1] neg_hi:[0,1]
	v_sub_f16_e32 v2, v2, v44
	v_pack_b32_f16 v26, v27, v37
	v_pack_b32_f16 v27, v46, v47
	v_pk_fma_f16 v16, 0x34f2, v15, v16 op_sel_hi:[0,1,1]
	v_pk_fma_f16 v12, 0x34f2, v15, v12 op_sel_hi:[0,1,1]
	v_pack_b32_f16 v31, v35, v39
	v_pack_b32_f16 v8, v40, v8
	s_load_dwordx2 s[2:3], s[2:3], 0x0
	ds_write2_b32 v18, v27, v26 offset1:1
	ds_write2_b32 v18, v8, v31 offset0:2 offset1:3
	v_pack_b32_f16 v2, v2, v34
	v_mul_f16_e32 v8, 0x34f2, v16
	v_lshrrev_b32_e32 v15, 16, v12
	v_mul_f16_e32 v26, 0x34f2, v12
	v_lshrrev_b32_e32 v27, 16, v16
	v_pk_add_f16 v48, v32, v25
	v_sub_f16_e32 v35, v32, v25
	v_bfi_b32 v31, 0xffff, v36, v32
	v_bfi_b32 v25, 0xffff, v30, v25
	ds_write_b32 v18, v2 offset:16
	v_fmac_f16_e32 v8, 0x3b9c, v15
	v_fma_f16 v2, v27, 0x3b9c, -v26
	v_pack_b32_f16 v11, v11, v23
	v_pk_add_f16 v15, v31, v25 neg_lo:[0,1] neg_hi:[0,1]
	v_pk_mul_f16 v16, 0x34f23b9c, v16
	v_add_f16_e32 v23, v43, v8
	v_add_f16_e32 v25, v10, v2
	v_sub_f16_e32 v8, v43, v8
	v_sub_f16_e32 v2, v10, v2
	v_add_nc_u32_e32 v29, 0xc80, v18
	v_pk_fma_f16 v12, 0x34f2bb9c, v12, v16 op_sel:[0,0,1] op_sel_hi:[1,1,0] neg_lo:[0,0,1] neg_hi:[0,0,1]
	v_pack_b32_f16 v10, v23, v25
	v_pack_b32_f16 v16, v55, v56
	v_add_nc_u32_e32 v38, 0xc88, v18
	v_pack_b32_f16 v8, v9, v8
	v_pack_b32_f16 v9, v57, v19
	;; [unrolled: 1-line block ×3, first 2 shown]
	ds_write2_b32 v29, v16, v10 offset1:1
	ds_write2_b32 v38, v9, v8 offset1:1
	ds_write_b32 v18, v2 offset:3216
	v_and_b32_e32 v2, 0xff, v1
	v_add_f16_e32 v49, v36, v30
	v_mul_f16_e32 v20, 0x34f2, v20
	v_mad_i32_i24 v0, 0xffffffee, v1, v18
	v_lshl_add_u32 v13, v3, 1, 0
	v_mul_lo_u16 v2, 0xcd, v2
	v_alignbit_b32 v10, v48, v48, 16
	v_pk_add_f16 v11, v20, v11 op_sel_hi:[0,1]
	v_pack_b32_f16 v20, v41, v49
	s_waitcnt lgkmcnt(0)
	v_lshrrev_b16 v9, 11, v2
	s_barrier
	buffer_gl0_inv
	ds_read_u16 v16, v0
	ds_read_u16 v34, v0 offset:2240
	ds_read_u16 v25, v0 offset:1920
	;; [unrolled: 1-line block ×15, first 2 shown]
	ds_read_u16 v46, v13
	ds_read_u16 v47, v0 offset:6080
	ds_read_u16 v52, v0 offset:5760
	;; [unrolled: 1-line block ×3, first 2 shown]
	s_waitcnt lgkmcnt(0)
	v_pack_b32_f16 v2, v50, v28
	s_barrier
	buffer_gl0_inv
	ds_write2_b32 v18, v20, v10 offset1:1
	v_mul_lo_u16 v10, v9, 10
	v_pk_add_f16 v14, v11, v12
	v_sub_f16_e32 v19, v11, v12
	ds_write2_b32 v18, v2, v15 offset0:2 offset1:3
	v_bfi_b32 v11, 0xffff, v51, v11
	v_bfi_b32 v12, 0xffff, v21, v12
	v_sub_nc_u16 v10, v1, v10
	v_mov_b32_e32 v15, 9
	v_add_f16_e32 v45, v51, v21
	v_pack_b32_f16 v2, v35, v33
	v_pk_add_f16 v11, v11, v12 neg_lo:[0,1] neg_hi:[0,1]
	v_pack_b32_f16 v12, v53, v17
	v_mul_u32_u24_sdwa v17, v10, v15 dst_sel:DWORD dst_unused:UNUSED_PAD src0_sel:BYTE_0 src1_sel:DWORD
	v_pack_b32_f16 v19, v19, v22
	v_alignbit_b32 v14, v14, v14, 16
	v_pack_b32_f16 v20, v24, v45
	ds_write_b32 v18, v2 offset:16
	ds_write2_b32 v29, v20, v14 offset1:1
	ds_write2_b32 v38, v12, v11 offset1:1
	v_lshlrev_b32_e32 v33, 2, v17
	ds_write_b32 v18, v19 offset:3216
	s_waitcnt lgkmcnt(0)
	s_barrier
	buffer_gl0_inv
	s_clause 0x1
	global_load_dwordx4 v[17:20], v33, s[8:9]
	global_load_dwordx4 v[21:24], v33, s[8:9] offset:16
	v_add_nc_u32_e32 v2, 0xa0, v1
	v_mov_b32_e32 v11, 0xcccd
	ds_read_u16 v28, v0 offset:640
	ds_read_u16 v29, v0 offset:1280
	ds_read_u16 v35, v13
	ds_read_u16 v38, v0 offset:1920
	ds_read_u16 v41, v0 offset:3200
	;; [unrolled: 1-line block ×5, first 2 shown]
	v_mul_u32_u24_sdwa v11, v2, v11 dst_sel:DWORD dst_unused:UNUSED_PAD src0_sel:WORD_0 src1_sel:DWORD
	ds_read_u16 v50, v0 offset:1600
	ds_read_u16 v51, v0 offset:960
	;; [unrolled: 1-line block ×4, first 2 shown]
	v_cmp_gt_u32_e64 s0, 0x64, v1
	v_lshrrev_b32_e32 v11, 19, v11
	v_mul_lo_u16 v12, v11, 10
	v_sub_nc_u16 v12, v2, v12
	v_mul_u32_u24_sdwa v15, v12, v15 dst_sel:DWORD dst_unused:UNUSED_PAD src0_sel:WORD_0 src1_sel:DWORD
	v_lshlrev_b32_e32 v15, 2, v15
	s_waitcnt vmcnt(1) lgkmcnt(11)
	v_mul_f16_sdwa v53, v28, v17 dst_sel:DWORD dst_unused:UNUSED_PAD src0_sel:DWORD src1_sel:WORD_1
	v_mul_f16_sdwa v56, v27, v17 dst_sel:DWORD dst_unused:UNUSED_PAD src0_sel:DWORD src1_sel:WORD_1
	s_waitcnt lgkmcnt(10)
	v_mul_f16_sdwa v57, v29, v18 dst_sel:DWORD dst_unused:UNUSED_PAD src0_sel:DWORD src1_sel:WORD_1
	v_mul_f16_sdwa v58, v26, v18 dst_sel:DWORD dst_unused:UNUSED_PAD src0_sel:DWORD src1_sel:WORD_1
	;; [unrolled: 1-line block ×3, first 2 shown]
	v_fma_f16 v53, v27, v17, -v53
	v_fmac_f16_e32 v56, v28, v17
	s_waitcnt lgkmcnt(8)
	v_mul_f16_sdwa v17, v38, v19 dst_sel:DWORD dst_unused:UNUSED_PAD src0_sel:DWORD src1_sel:WORD_1
	v_fma_f16 v57, v26, v18, -v57
	v_fmac_f16_e32 v58, v29, v18
	v_mul_f16_sdwa v18, v35, v20 dst_sel:DWORD dst_unused:UNUSED_PAD src0_sel:DWORD src1_sel:WORD_1
	v_mul_f16_sdwa v61, v46, v20 dst_sel:DWORD dst_unused:UNUSED_PAD src0_sel:DWORD src1_sel:WORD_1
	v_fma_f16 v60, v25, v19, -v17
	global_load_dwordx4 v[25:28], v15, s[8:9]
	v_fmac_f16_e32 v59, v38, v19
	v_fma_f16 v38, v46, v20, -v18
	ds_read_u16 v17, v0 offset:5120
	ds_read_u16 v46, v0 offset:4800
	s_waitcnt vmcnt(1) lgkmcnt(9)
	v_mul_f16_sdwa v18, v41, v21 dst_sel:DWORD dst_unused:UNUSED_PAD src0_sel:DWORD src1_sel:WORD_1
	v_mul_f16_sdwa v62, v43, v21 dst_sel:DWORD dst_unused:UNUSED_PAD src0_sel:DWORD src1_sel:WORD_1
	v_fmac_f16_e32 v61, v35, v20
	ds_read_u16 v35, v0 offset:4160
	ds_read_u16 v19, v0 offset:3520
	;; [unrolled: 1-line block ×3, first 2 shown]
	v_fma_f16 v43, v43, v21, -v18
	v_fmac_f16_e32 v62, v41, v21
	s_waitcnt lgkmcnt(11)
	v_mul_f16_sdwa v18, v45, v22 dst_sel:DWORD dst_unused:UNUSED_PAD src0_sel:DWORD src1_sel:WORD_1
	v_mul_f16_sdwa v41, v32, v22 dst_sel:DWORD dst_unused:UNUSED_PAD src0_sel:DWORD src1_sel:WORD_1
	v_fma_f16 v63, v32, v22, -v18
	v_fmac_f16_e32 v41, v45, v22
	s_waitcnt lgkmcnt(10)
	v_mul_f16_sdwa v18, v48, v23 dst_sel:DWORD dst_unused:UNUSED_PAD src0_sel:DWORD src1_sel:WORD_1
	v_mul_f16_sdwa v22, v31, v23 dst_sel:DWORD dst_unused:UNUSED_PAD src0_sel:DWORD src1_sel:WORD_1
	;; [unrolled: 5-line block ×3, first 2 shown]
	v_fma_f16 v48, v30, v24, -v18
	v_fmac_f16_e32 v23, v17, v24
	s_clause 0x2
	global_load_dwordx4 v[29:32], v15, s[8:9] offset:16
	global_load_dword v24, v33, s[8:9] offset:32
	global_load_dword v33, v15, s[8:9] offset:32
	s_waitcnt vmcnt(3)
	v_mul_f16_sdwa v15, v51, v25 dst_sel:DWORD dst_unused:UNUSED_PAD src0_sel:DWORD src1_sel:WORD_1
	v_mul_f16_sdwa v17, v37, v25 dst_sel:DWORD dst_unused:UNUSED_PAD src0_sel:DWORD src1_sel:WORD_1
	;; [unrolled: 1-line block ×3, first 2 shown]
	v_fma_f16 v15, v37, v25, -v15
	v_fmac_f16_e32 v17, v51, v25
	v_fma_f16 v25, v36, v26, -v18
	v_mul_f16_sdwa v18, v49, v27 dst_sel:DWORD dst_unused:UNUSED_PAD src0_sel:DWORD src1_sel:WORD_1
	v_mul_f16_sdwa v36, v36, v26 dst_sel:DWORD dst_unused:UNUSED_PAD src0_sel:DWORD src1_sel:WORD_1
	v_sub_f16_e32 v51, v48, v63
	v_fma_f16 v21, v34, v27, -v18
	v_mul_f16_sdwa v18, v34, v27 dst_sel:DWORD dst_unused:UNUSED_PAD src0_sel:DWORD src1_sel:WORD_1
	v_fmac_f16_e32 v36, v50, v26
	s_waitcnt lgkmcnt(0)
	v_mul_f16_sdwa v26, v20, v28 dst_sel:DWORD dst_unused:UNUSED_PAD src0_sel:DWORD src1_sel:WORD_1
	ds_read_u16 v34, v0 offset:5760
	v_sub_f16_e32 v50, v58, v23
	v_fmac_f16_e32 v18, v49, v27
	v_mul_f16_sdwa v27, v44, v28 dst_sel:DWORD dst_unused:UNUSED_PAD src0_sel:DWORD src1_sel:WORD_1
	v_fma_f16 v26, v44, v28, -v26
	v_fmac_f16_e32 v27, v20, v28
	ds_read_u16 v28, v0 offset:5440
	s_waitcnt vmcnt(2)
	v_mul_f16_sdwa v37, v19, v29 dst_sel:DWORD dst_unused:UNUSED_PAD src0_sel:DWORD src1_sel:WORD_1
	v_mul_f16_sdwa v20, v42, v29 dst_sel:DWORD dst_unused:UNUSED_PAD src0_sel:DWORD src1_sel:WORD_1
	;; [unrolled: 1-line block ×3, first 2 shown]
	v_fma_f16 v37, v42, v29, -v37
	v_mul_f16_sdwa v42, v35, v30 dst_sel:DWORD dst_unused:UNUSED_PAD src0_sel:DWORD src1_sel:WORD_1
	v_fmac_f16_e32 v20, v19, v29
	v_mul_f16_sdwa v29, v40, v30 dst_sel:DWORD dst_unused:UNUSED_PAD src0_sel:DWORD src1_sel:WORD_1
	v_mul_f16_sdwa v19, v39, v31 dst_sel:DWORD dst_unused:UNUSED_PAD src0_sel:DWORD src1_sel:WORD_1
	s_waitcnt vmcnt(1) lgkmcnt(1)
	v_mul_f16_sdwa v49, v34, v24 dst_sel:DWORD dst_unused:UNUSED_PAD src0_sel:DWORD src1_sel:WORD_1
	v_fma_f16 v40, v40, v30, -v42
	v_fmac_f16_e32 v29, v35, v30
	v_fma_f16 v30, v39, v31, -v44
	v_mul_f16_sdwa v39, v54, v32 dst_sel:DWORD dst_unused:UNUSED_PAD src0_sel:DWORD src1_sel:WORD_1
	v_fmac_f16_e32 v19, v46, v31
	ds_read_u16 v31, v0
	s_waitcnt lgkmcnt(1)
	v_mul_f16_sdwa v35, v28, v32 dst_sel:DWORD dst_unused:UNUSED_PAD src0_sel:DWORD src1_sel:WORD_1
	v_mul_f16_sdwa v44, v52, v24 dst_sel:DWORD dst_unused:UNUSED_PAD src0_sel:DWORD src1_sel:WORD_1
	v_fmac_f16_e32 v39, v28, v32
	v_fma_f16 v42, v52, v24, -v49
	s_waitcnt vmcnt(0)
	v_mul_f16_sdwa v46, v55, v33 dst_sel:DWORD dst_unused:UNUSED_PAD src0_sel:DWORD src1_sel:WORD_1
	v_fma_f16 v35, v54, v32, -v35
	v_add_f16_e32 v32, v38, v63
	v_mul_f16_sdwa v49, v47, v33 dst_sel:DWORD dst_unused:UNUSED_PAD src0_sel:DWORD src1_sel:WORD_1
	v_fmac_f16_e32 v44, v34, v24
	v_add_f16_e32 v34, v57, v48
	v_add_f16_e32 v28, v16, v57
	v_fma_f16 v32, -0.5, v32, v16
	v_fma_f16 v24, v47, v33, -v46
	v_fmac_f16_e32 v49, v55, v33
	v_sub_f16_e32 v46, v61, v41
	v_sub_f16_e32 v47, v57, v38
	v_fmamk_f16 v33, v50, 0x3b9c, v32
	v_fmac_f16_e32 v32, 0xbb9c, v50
	v_fmac_f16_e32 v16, -0.5, v34
	v_add_f16_e32 v28, v28, v38
	v_sub_f16_e32 v34, v38, v57
	v_sub_f16_e32 v52, v63, v48
	v_fmac_f16_e32 v33, 0x38b4, v46
	v_add_f16_e32 v47, v47, v51
	v_fmac_f16_e32 v32, 0xb8b4, v46
	v_fmamk_f16 v51, v46, 0xbb9c, v16
	v_fmac_f16_e32 v16, 0x3b9c, v46
	s_waitcnt lgkmcnt(0)
	v_add_f16_e32 v46, v31, v58
	v_add_f16_e32 v28, v28, v63
	;; [unrolled: 1-line block ×4, first 2 shown]
	v_fmac_f16_e32 v51, 0x38b4, v50
	v_add_f16_e32 v46, v46, v61
	v_fmac_f16_e32 v16, 0xb8b4, v50
	v_add_f16_e32 v50, v58, v23
	v_add_f16_e32 v28, v28, v48
	v_fma_f16 v52, -0.5, v52, v31
	v_sub_f16_e32 v48, v57, v48
	v_add_f16_e32 v46, v46, v41
	v_sub_f16_e32 v38, v38, v63
	v_sub_f16_e32 v54, v58, v61
	;; [unrolled: 1-line block ×3, first 2 shown]
	v_fmac_f16_e32 v31, -0.5, v50
	v_fmac_f16_e32 v33, 0x34f2, v47
	v_fmac_f16_e32 v32, 0x34f2, v47
	;; [unrolled: 1-line block ×3, first 2 shown]
	v_fmamk_f16 v47, v48, 0xbb9c, v52
	v_fmac_f16_e32 v16, 0x34f2, v34
	v_add_f16_e32 v34, v46, v23
	v_add_f16_e32 v46, v54, v55
	v_fmac_f16_e32 v52, 0x3b9c, v48
	v_fmamk_f16 v50, v38, 0x3b9c, v31
	v_sub_f16_e32 v54, v61, v58
	v_sub_f16_e32 v23, v41, v23
	v_fmac_f16_e32 v31, 0xbb9c, v38
	v_fmac_f16_e32 v47, 0xb8b4, v38
	;; [unrolled: 1-line block ×4, first 2 shown]
	v_add_f16_e32 v23, v54, v23
	v_fmac_f16_e32 v31, 0x38b4, v48
	v_add_f16_e32 v38, v53, v60
	v_add_f16_e32 v41, v43, v45
	v_fmac_f16_e32 v47, 0x34f2, v46
	v_fmac_f16_e32 v50, 0x34f2, v23
	;; [unrolled: 1-line block ×3, first 2 shown]
	v_add_f16_e32 v23, v38, v43
	v_fma_f16 v38, -0.5, v41, v53
	v_add_f16_e32 v41, v60, v42
	v_fmac_f16_e32 v52, 0x34f2, v46
	v_sub_f16_e32 v46, v59, v44
	v_sub_f16_e32 v48, v60, v43
	;; [unrolled: 1-line block ×4, first 2 shown]
	v_fmac_f16_e32 v53, -0.5, v41
	v_fmamk_f16 v41, v46, 0x3b9c, v38
	v_fmac_f16_e32 v38, 0xbb9c, v46
	v_add_f16_e32 v48, v48, v54
	v_add_f16_e32 v23, v23, v45
	v_fmamk_f16 v54, v55, 0xbb9c, v53
	v_fmac_f16_e32 v53, 0x3b9c, v55
	v_sub_f16_e32 v57, v43, v60
	v_sub_f16_e32 v58, v45, v42
	v_fmac_f16_e32 v41, 0x38b4, v55
	v_fmac_f16_e32 v38, 0xb8b4, v55
	;; [unrolled: 1-line block ×3, first 2 shown]
	v_add_f16_e32 v55, v62, v22
	v_fmac_f16_e32 v53, 0xb8b4, v46
	v_add_f16_e32 v46, v59, v44
	v_add_f16_e32 v23, v23, v42
	;; [unrolled: 1-line block ×3, first 2 shown]
	v_fmac_f16_e32 v41, 0x34f2, v48
	v_fmac_f16_e32 v38, 0x34f2, v48
	v_fma_f16 v48, -0.5, v55, v56
	v_sub_f16_e32 v42, v60, v42
	v_add_f16_e32 v55, v56, v59
	v_sub_f16_e32 v43, v43, v45
	v_fmac_f16_e32 v56, -0.5, v46
	v_fmac_f16_e32 v54, 0x34f2, v57
	v_fmac_f16_e32 v53, 0x34f2, v57
	v_fmamk_f16 v45, v42, 0xbb9c, v48
	v_sub_f16_e32 v46, v59, v62
	v_sub_f16_e32 v57, v44, v22
	v_fmamk_f16 v58, v43, 0x3b9c, v56
	v_sub_f16_e32 v59, v62, v59
	v_sub_f16_e32 v60, v22, v44
	v_add_f16_e32 v55, v55, v62
	v_fmac_f16_e32 v45, 0xb8b4, v43
	v_add_f16_e32 v46, v46, v57
	v_fmac_f16_e32 v58, 0xb8b4, v42
	;; [unrolled: 2-line block ×4, first 2 shown]
	v_fmac_f16_e32 v45, 0x34f2, v46
	v_fmac_f16_e32 v58, 0x34f2, v57
	;; [unrolled: 1-line block ×3, first 2 shown]
	v_add_f16_e32 v22, v22, v44
	v_fmac_f16_e32 v48, 0x38b4, v43
	v_mul_f16_e32 v42, 0x38b4, v45
	v_mul_f16_e32 v43, 0x3b9c, v58
	v_fmac_f16_e32 v56, 0x34f2, v57
	v_mul_f16_e32 v44, 0x34f2, v53
	v_fmac_f16_e32 v48, 0x34f2, v46
	v_fmac_f16_e32 v42, 0x3a79, v41
	;; [unrolled: 1-line block ×3, first 2 shown]
	v_mul_f16_e32 v46, 0x3a79, v38
	v_fma_f16 v44, v56, 0x3b9c, -v44
	v_mul_f16_e32 v41, 0xb8b4, v41
	v_add_f16_e32 v57, v33, v42
	v_add_f16_e32 v59, v51, v43
	v_fma_f16 v46, v48, 0x38b4, -v46
	v_add_f16_e32 v60, v16, v44
	v_mul_f16_e32 v54, 0xbb9c, v54
	v_mul_f16_e32 v56, 0x34f2, v56
	;; [unrolled: 1-line block ×3, first 2 shown]
	v_fmac_f16_e32 v41, 0x3a79, v45
	v_sub_f16_e32 v33, v33, v42
	v_sub_f16_e32 v42, v51, v43
	;; [unrolled: 1-line block ×3, first 2 shown]
	v_add_f16_e32 v43, v8, v25
	v_add_f16_e32 v44, v26, v40
	v_fmac_f16_e32 v54, 0x34f2, v58
	v_fma_f16 v45, v53, 0xbb9c, -v56
	v_add_f16_e32 v53, v34, v22
	v_fma_f16 v38, v38, 0xb8b4, -v48
	v_add_f16_e32 v48, v47, v41
	v_sub_f16_e32 v22, v34, v22
	v_sub_f16_e32 v34, v47, v41
	v_add_f16_e32 v41, v43, v26
	v_fma_f16 v43, -0.5, v44, v8
	v_sub_f16_e32 v44, v36, v39
	v_add_f16_e32 v47, v25, v35
	v_add_f16_e32 v55, v28, v23
	v_add_f16_e32 v61, v32, v46
	v_add_f16_e32 v56, v50, v54
	v_add_f16_e32 v58, v31, v45
	v_sub_f16_e32 v23, v28, v23
	v_add_f16_e32 v28, v52, v38
	v_sub_f16_e32 v32, v32, v46
	v_sub_f16_e32 v46, v50, v54
	;; [unrolled: 1-line block ×4, first 2 shown]
	v_fmamk_f16 v45, v44, 0x3b9c, v43
	v_sub_f16_e32 v50, v27, v29
	v_sub_f16_e32 v51, v25, v26
	;; [unrolled: 1-line block ×3, first 2 shown]
	v_fmac_f16_e32 v43, 0xbb9c, v44
	v_fmac_f16_e32 v8, -0.5, v47
	v_fmac_f16_e32 v45, 0x38b4, v50
	v_add_f16_e32 v41, v41, v40
	v_add_f16_e32 v51, v51, v52
	v_fmac_f16_e32 v43, 0xb8b4, v50
	v_fmamk_f16 v52, v50, 0xbb9c, v8
	v_fmac_f16_e32 v8, 0x3b9c, v50
	v_add_f16_e32 v50, v14, v36
	v_sub_f16_e32 v47, v26, v25
	v_sub_f16_e32 v54, v40, v35
	v_add_f16_e32 v41, v41, v35
	v_sub_f16_e32 v25, v25, v35
	v_add_f16_e32 v50, v50, v27
	v_fmac_f16_e32 v52, 0x38b4, v44
	v_add_f16_e32 v47, v47, v54
	v_add_f16_e32 v54, v27, v29
	v_fmac_f16_e32 v8, 0xb8b4, v44
	v_add_f16_e32 v35, v50, v29
	v_add_f16_e32 v50, v36, v39
	v_sub_f16_e32 v26, v26, v40
	v_fma_f16 v54, -0.5, v54, v14
	v_fmac_f16_e32 v45, 0x34f2, v51
	v_fmac_f16_e32 v43, 0x34f2, v51
	v_fmac_f16_e32 v14, -0.5, v50
	v_fmac_f16_e32 v52, 0x34f2, v47
	v_fmamk_f16 v44, v25, 0xbb9c, v54
	v_sub_f16_e32 v40, v36, v27
	v_sub_f16_e32 v51, v39, v29
	v_fmac_f16_e32 v8, 0x34f2, v47
	v_fmac_f16_e32 v54, 0x3b9c, v25
	v_fmamk_f16 v47, v26, 0x3b9c, v14
	v_sub_f16_e32 v27, v27, v36
	v_sub_f16_e32 v29, v29, v39
	v_fmac_f16_e32 v14, 0xbb9c, v26
	v_fmac_f16_e32 v44, 0xb8b4, v26
	;; [unrolled: 1-line block ×4, first 2 shown]
	v_add_f16_e32 v26, v27, v29
	v_fmac_f16_e32 v14, 0x38b4, v25
	v_add_f16_e32 v27, v37, v30
	v_add_f16_e32 v40, v40, v51
	;; [unrolled: 1-line block ×3, first 2 shown]
	v_fmac_f16_e32 v47, 0x34f2, v26
	v_fmac_f16_e32 v14, 0x34f2, v26
	v_fma_f16 v26, -0.5, v27, v15
	v_add_f16_e32 v27, v21, v24
	v_fmac_f16_e32 v44, 0x34f2, v40
	v_add_f16_e32 v25, v15, v21
	v_fmac_f16_e32 v54, 0x34f2, v40
	v_sub_f16_e32 v29, v18, v49
	v_sub_f16_e32 v36, v21, v37
	;; [unrolled: 1-line block ×4, first 2 shown]
	v_fmac_f16_e32 v15, -0.5, v27
	v_add_f16_e32 v25, v25, v37
	v_fmamk_f16 v27, v29, 0x3b9c, v26
	v_add_f16_e32 v36, v36, v39
	v_fmac_f16_e32 v26, 0xbb9c, v29
	v_fmamk_f16 v39, v40, 0xbb9c, v15
	v_fmac_f16_e32 v15, 0x3b9c, v40
	v_add_f16_e32 v25, v25, v30
	v_sub_f16_e32 v50, v37, v21
	v_sub_f16_e32 v51, v30, v24
	v_fmac_f16_e32 v27, 0x38b4, v40
	v_fmac_f16_e32 v26, 0xb8b4, v40
	;; [unrolled: 1-line block ×3, first 2 shown]
	v_add_f16_e32 v40, v20, v19
	v_fmac_f16_e32 v15, 0xb8b4, v29
	v_add_f16_e32 v29, v18, v49
	v_add_f16_e32 v25, v25, v24
	;; [unrolled: 1-line block ×3, first 2 shown]
	v_fmac_f16_e32 v27, 0x34f2, v36
	v_fmac_f16_e32 v26, 0x34f2, v36
	v_fma_f16 v36, -0.5, v40, v17
	v_sub_f16_e32 v21, v21, v24
	v_add_f16_e32 v24, v17, v18
	v_sub_f16_e32 v30, v37, v30
	v_fmac_f16_e32 v17, -0.5, v29
	v_fmac_f16_e32 v39, 0x34f2, v50
	v_fmac_f16_e32 v15, 0x34f2, v50
	v_sub_f16_e32 v37, v18, v20
	v_sub_f16_e32 v18, v20, v18
	v_fmamk_f16 v50, v30, 0x3b9c, v17
	v_sub_f16_e32 v51, v19, v49
	v_fmac_f16_e32 v17, 0xbb9c, v30
	v_fmamk_f16 v29, v21, 0xbb9c, v36
	v_sub_f16_e32 v40, v49, v19
	v_fmac_f16_e32 v50, 0xb8b4, v21
	v_add_f16_e32 v18, v18, v51
	v_fmac_f16_e32 v17, 0x38b4, v21
	v_add_f16_e32 v20, v24, v20
	;; [unrolled: 2-line block ×3, first 2 shown]
	v_fmac_f16_e32 v50, 0x34f2, v18
	v_fmac_f16_e32 v17, 0x34f2, v18
	v_mul_f16_e32 v18, 0x34f2, v15
	v_fmac_f16_e32 v36, 0x3b9c, v21
	v_fmac_f16_e32 v29, 0x34f2, v24
	v_add_f16_e32 v19, v20, v19
	v_mul_f16_e32 v21, 0x3b9c, v50
	v_fma_f16 v18, v17, 0x3b9c, -v18
	v_mul_f16_e32 v17, 0x34f2, v17
	v_fmac_f16_e32 v36, 0x38b4, v30
	v_add_f16_e32 v30, v41, v25
	v_sub_f16_e32 v25, v41, v25
	v_mov_b32_e32 v41, 0xc8
	v_fma_f16 v17, v15, 0xbb9c, -v17
	v_mov_b32_e32 v15, 1
	v_mul_f16_e32 v20, 0x38b4, v29
	v_fmac_f16_e32 v36, 0x34f2, v24
	v_mul_u32_u24_sdwa v9, v9, v41 dst_sel:DWORD dst_unused:UNUSED_PAD src0_sel:WORD_0 src1_sel:DWORD
	v_mul_f16_e32 v24, 0x3a79, v26
	v_lshlrev_b32_sdwa v10, v15, v10 dst_sel:DWORD dst_unused:UNUSED_PAD src0_sel:DWORD src1_sel:BYTE_0
	v_fmac_f16_e32 v20, 0x3a79, v27
	v_mul_f16_e32 v27, 0xb8b4, v27
	v_fmac_f16_e32 v21, 0x34f2, v39
	v_fma_f16 v24, v36, 0x38b4, -v24
	v_add3_u32 v9, 0, v9, v10
	v_mul_u32_u24_e32 v10, 0xc8, v11
	v_lshlrev_b32_sdwa v11, v15, v12 dst_sel:DWORD dst_unused:UNUSED_PAD src0_sel:DWORD src1_sel:WORD_0
	v_mul_f16_e32 v39, 0xbb9c, v39
	v_fmac_f16_e32 v27, 0x3a79, v29
	v_mul_f16_e32 v29, 0x3a79, v36
	v_add_f16_e32 v19, v19, v49
	v_add_f16_e32 v49, v8, v18
	v_sub_f16_e32 v8, v8, v18
	v_add3_u32 v12, 0, v10, v11
	v_add_f16_e32 v37, v45, v20
	v_add_f16_e32 v40, v52, v21
	;; [unrolled: 1-line block ×3, first 2 shown]
	v_fmac_f16_e32 v39, 0x34f2, v50
	v_fma_f16 v26, v26, 0xb8b4, -v29
	v_sub_f16_e32 v20, v45, v20
	v_sub_f16_e32 v21, v52, v21
	;; [unrolled: 1-line block ×3, first 2 shown]
	s_barrier
	buffer_gl0_inv
	ds_write_b16 v9, v55
	ds_write_b16 v9, v57 offset:20
	ds_write_b16 v9, v59 offset:40
	ds_write_b16 v9, v60 offset:60
	ds_write_b16 v9, v61 offset:80
	ds_write_b16 v9, v23 offset:100
	ds_write_b16 v9, v33 offset:120
	ds_write_b16 v9, v42 offset:140
	ds_write_b16 v9, v16 offset:160
	ds_write_b16 v9, v32 offset:180
	ds_write_b16 v12, v30
	ds_write_b16 v12, v37 offset:20
	ds_write_b16 v12, v40 offset:40
	;; [unrolled: 1-line block ×9, first 2 shown]
	v_add_nc_u32_e32 v8, 0xffffff9c, v1
	v_add_f16_e32 v36, v35, v19
	v_add_f16_e32 v50, v44, v27
	;; [unrolled: 1-line block ×5, first 2 shown]
	v_sub_f16_e32 v19, v35, v19
	v_sub_f16_e32 v24, v44, v27
	;; [unrolled: 1-line block ×5, first 2 shown]
	s_waitcnt lgkmcnt(0)
	s_barrier
	buffer_gl0_inv
	v_lshl_add_u32 v14, v1, 1, 0
	ds_read_u16 v20, v0
	ds_read_u16 v21, v0 offset:320
	ds_read_u16 v23, v0 offset:640
	;; [unrolled: 1-line block ×19, first 2 shown]
	s_waitcnt lgkmcnt(0)
	s_barrier
	buffer_gl0_inv
	ds_write_b16 v9, v53
	ds_write_b16 v9, v48 offset:20
	ds_write_b16 v9, v56 offset:40
	;; [unrolled: 1-line block ×7, first 2 shown]
	v_cndmask_b32_e64 v22, v8, v1, s0
	ds_write_b16 v9, v31 offset:160
	ds_write_b16 v9, v38 offset:180
	ds_write_b16 v12, v36
	ds_write_b16 v12, v50 offset:20
	ds_write_b16 v12, v62 offset:40
	;; [unrolled: 1-line block ×4, first 2 shown]
	v_mov_b32_e32 v9, 0
	ds_write_b16 v12, v19 offset:100
	ds_write_b16 v12, v24 offset:120
	v_mul_i32_i24_e32 v8, 3, v22
	v_lshrrev_b16 v16, 2, v2
	v_mov_b32_e32 v19, 0x147b
	ds_write_b16 v12, v27 offset:140
	ds_write_b16 v12, v17 offset:160
	;; [unrolled: 1-line block ×3, first 2 shown]
	s_waitcnt lgkmcnt(0)
	v_lshlrev_b64 v[10:11], 2, v[8:9]
	s_barrier
	v_mul_u32_u24_sdwa v8, v16, v19 dst_sel:DWORD dst_unused:UNUSED_PAD src0_sel:WORD_0 src1_sel:DWORD
	buffer_gl0_inv
	v_mov_b32_e32 v24, 3
	v_add_nc_u32_e32 v28, 0x140, v1
	v_add_co_u32 v10, s0, s8, v10
	v_lshrrev_b32_e32 v8, 17, v8
	v_add_co_ci_u32_e64 v11, s0, s9, v11, s0
	v_lshrrev_b16 v50, 2, v28
	v_cmp_lt_u32_e64 s0, 0x63, v1
	v_mul_lo_u16 v16, 0x64, v8
	global_load_dwordx3 v[10:12], v[10:11], off offset:360
	v_lshlrev_b32_e32 v22, 1, v22
	v_mul_u32_u24_sdwa v50, v50, v19 dst_sel:DWORD dst_unused:UNUSED_PAD src0_sel:WORD_0 src1_sel:DWORD
	v_mul_u32_u24_e32 v8, 0x320, v8
	v_sub_nc_u16 v2, v2, v16
	v_lshrrev_b32_e32 v50, 17, v50
	v_mul_u32_u24_sdwa v16, v2, v24 dst_sel:DWORD dst_unused:UNUSED_PAD src0_sel:WORD_0 src1_sel:DWORD
	v_lshlrev_b32_sdwa v2, v15, v2 dst_sel:DWORD dst_unused:UNUSED_PAD src0_sel:DWORD src1_sel:WORD_0
	v_lshlrev_b32_e32 v16, 2, v16
	v_add3_u32 v2, 0, v8, v2
	v_mul_u32_u24_e32 v8, 0x320, v50
	global_load_dwordx3 v[16:18], v16, s[8:9] offset:360
	ds_read_u16 v26, v14 offset:1600
	ds_read_u16 v27, v0 offset:3200
	;; [unrolled: 1-line block ×14, first 2 shown]
	s_waitcnt vmcnt(1) lgkmcnt(13)
	v_mul_f16_sdwa v48, v26, v10 dst_sel:DWORD dst_unused:UNUSED_PAD src0_sel:DWORD src1_sel:WORD_1
	v_mul_f16_sdwa v58, v51, v10 dst_sel:DWORD dst_unused:UNUSED_PAD src0_sel:DWORD src1_sel:WORD_1
	v_fma_f16 v48, v51, v10, -v48
	s_waitcnt lgkmcnt(12)
	v_mul_f16_sdwa v51, v27, v11 dst_sel:DWORD dst_unused:UNUSED_PAD src0_sel:DWORD src1_sel:WORD_1
	v_fmac_f16_e32 v58, v26, v10
	v_mul_f16_sdwa v26, v30, v11 dst_sel:DWORD dst_unused:UNUSED_PAD src0_sel:DWORD src1_sel:WORD_1
	s_waitcnt lgkmcnt(11)
	v_mul_f16_sdwa v10, v29, v12 dst_sel:DWORD dst_unused:UNUSED_PAD src0_sel:DWORD src1_sel:WORD_1
	v_fma_f16 v30, v30, v11, -v51
	v_mul_f16_sdwa v51, v47, v12 dst_sel:DWORD dst_unused:UNUSED_PAD src0_sel:DWORD src1_sel:WORD_1
	v_fmac_f16_e32 v26, v27, v11
	v_fma_f16 v27, v47, v12, -v10
	v_mul_lo_u16 v10, 0x64, v50
	v_fmac_f16_e32 v51, v29, v12
	s_waitcnt vmcnt(0) lgkmcnt(4)
	v_mul_f16_sdwa v11, v53, v16 dst_sel:DWORD dst_unused:UNUSED_PAD src0_sel:DWORD src1_sel:WORD_1
	v_mul_f16_sdwa v29, v42, v16 dst_sel:DWORD dst_unused:UNUSED_PAD src0_sel:DWORD src1_sel:WORD_1
	v_sub_nc_u16 v60, v28, v10
	v_mul_f16_sdwa v10, v38, v17 dst_sel:DWORD dst_unused:UNUSED_PAD src0_sel:DWORD src1_sel:WORD_1
	v_mul_f16_sdwa v61, v32, v17 dst_sel:DWORD dst_unused:UNUSED_PAD src0_sel:DWORD src1_sel:WORD_1
	v_fma_f16 v42, v42, v16, -v11
	v_fmac_f16_e32 v29, v53, v16
	v_mul_u32_u24_sdwa v11, v60, v24 dst_sel:DWORD dst_unused:UNUSED_PAD src0_sel:WORD_0 src1_sel:DWORD
	v_add_nc_u16 v16, v1, 0x1e0
	v_fma_f16 v32, v32, v17, -v10
	v_fmac_f16_e32 v61, v38, v17
	v_mul_f16_sdwa v10, v31, v18 dst_sel:DWORD dst_unused:UNUSED_PAD src0_sel:DWORD src1_sel:WORD_1
	v_lshlrev_b32_e32 v11, 2, v11
	v_lshrrev_b16 v17, 2, v16
	v_mul_f16_sdwa v38, v44, v18 dst_sel:DWORD dst_unused:UNUSED_PAD src0_sel:DWORD src1_sel:WORD_1
	v_sub_f16_e32 v27, v48, v27
	v_fma_f16 v44, v44, v18, -v10
	global_load_dwordx3 v[10:12], v11, s[8:9] offset:360
	v_mul_u32_u24_sdwa v17, v17, v19 dst_sel:DWORD dst_unused:UNUSED_PAD src0_sel:WORD_0 src1_sel:DWORD
	v_fmac_f16_e32 v38, v31, v18
	v_lshlrev_b32_sdwa v50, v15, v60 dst_sel:DWORD dst_unused:UNUSED_PAD src0_sel:DWORD src1_sel:WORD_0
	v_sub_f16_e32 v44, v42, v44
	v_lshrrev_b32_e32 v31, 17, v17
	v_sub_f16_e32 v38, v29, v38
	v_add3_u32 v8, 0, v8, v50
	v_fma_f16 v42, v42, 2.0, -v44
	v_mul_lo_u16 v17, 0x64, v31
	v_fma_f16 v29, v29, 2.0, -v38
	v_sub_nc_u16 v53, v16, v17
	v_mul_u32_u24_sdwa v16, v53, v24 dst_sel:DWORD dst_unused:UNUSED_PAD src0_sel:WORD_0 src1_sel:DWORD
	v_lshlrev_b32_e32 v16, 2, v16
	global_load_dwordx3 v[16:18], v16, s[8:9] offset:360
	s_waitcnt vmcnt(1) lgkmcnt(3)
	v_mul_f16_sdwa v62, v55, v10 dst_sel:DWORD dst_unused:UNUSED_PAD src0_sel:DWORD src1_sel:WORD_1
	v_fma_f16 v62, v41, v10, -v62
	v_mul_f16_sdwa v41, v41, v10 dst_sel:DWORD dst_unused:UNUSED_PAD src0_sel:DWORD src1_sel:WORD_1
	v_fmac_f16_e32 v41, v55, v10
	v_mul_f16_sdwa v10, v45, v11 dst_sel:DWORD dst_unused:UNUSED_PAD src0_sel:DWORD src1_sel:WORD_1
	v_fma_f16 v55, v33, v11, -v10
	v_mul_f16_sdwa v33, v33, v11 dst_sel:DWORD dst_unused:UNUSED_PAD src0_sel:DWORD src1_sel:WORD_1
	v_mul_f16_sdwa v10, v34, v12 dst_sel:DWORD dst_unused:UNUSED_PAD src0_sel:DWORD src1_sel:WORD_1
	v_sub_f16_e32 v55, v23, v55
	v_fmac_f16_e32 v33, v45, v11
	v_fma_f16 v11, v25, v12, -v10
	v_mul_f16_sdwa v25, v25, v12 dst_sel:DWORD dst_unused:UNUSED_PAD src0_sel:DWORD src1_sel:WORD_1
	v_fma_f16 v23, v23, 2.0, -v55
	v_sub_f16_e32 v11, v62, v11
	v_fmac_f16_e32 v25, v34, v12
	ds_read_u16 v12, v0 offset:5760
	s_waitcnt vmcnt(0) lgkmcnt(3)
	v_mul_f16_sdwa v10, v56, v16 dst_sel:DWORD dst_unused:UNUSED_PAD src0_sel:DWORD src1_sel:WORD_1
	v_sub_f16_e32 v25, v41, v25
	v_fma_f16 v34, v39, v16, -v10
	v_mul_f16_sdwa v10, v46, v17 dst_sel:DWORD dst_unused:UNUSED_PAD src0_sel:DWORD src1_sel:WORD_1
	v_mul_f16_sdwa v39, v39, v16 dst_sel:DWORD dst_unused:UNUSED_PAD src0_sel:DWORD src1_sel:WORD_1
	v_fma_f16 v41, v41, 2.0, -v25
	v_sub_f16_e32 v25, v55, v25
	v_fma_f16 v45, v35, v17, -v10
	v_mul_f16_sdwa v35, v35, v17 dst_sel:DWORD dst_unused:UNUSED_PAD src0_sel:DWORD src1_sel:WORD_1
	v_fmac_f16_e32 v39, v56, v16
	v_fma_f16 v55, v55, 2.0, -v25
	v_sub_f16_e32 v45, v52, v45
	v_fmac_f16_e32 v35, v46, v17
	ds_read_u16 v46, v0 offset:6080
	s_waitcnt lgkmcnt(1)
	v_mul_f16_sdwa v10, v12, v18 dst_sel:DWORD dst_unused:UNUSED_PAD src0_sel:DWORD src1_sel:WORD_1
	ds_read_u16 v47, v0 offset:1280
	v_fma_f16 v52, v52, 2.0, -v45
	v_sub_f16_e32 v35, v36, v35
	v_fma_f16 v56, v37, v18, -v10
	v_mul_f16_sdwa v37, v37, v18 dst_sel:DWORD dst_unused:UNUSED_PAD src0_sel:DWORD src1_sel:WORD_1
	v_add_nc_u32_e32 v10, 0x280, v1
	v_fma_f16 v36, v36, 2.0, -v35
	v_sub_f16_e32 v56, v34, v56
	v_fmac_f16_e32 v37, v12, v18
	v_lshrrev_b16 v12, 2, v10
	v_fma_f16 v34, v34, 2.0, -v56
	v_sub_f16_e32 v37, v39, v37
	v_mul_u32_u24_sdwa v12, v12, v19 dst_sel:DWORD dst_unused:UNUSED_PAD src0_sel:WORD_0 src1_sel:DWORD
	v_add_f16_e32 v56, v35, v56
	v_sub_f16_e32 v34, v52, v34
	v_fma_f16 v39, v39, 2.0, -v37
	v_lshrrev_b32_e32 v12, 17, v12
	v_sub_f16_e32 v37, v45, v37
	v_fma_f16 v35, v35, 2.0, -v56
	v_fma_f16 v52, v52, 2.0, -v34
	v_sub_f16_e32 v39, v36, v39
	v_mul_lo_u16 v16, 0x64, v12
	v_mul_u32_u24_e32 v12, 0x320, v12
	v_fma_f16 v45, v45, 2.0, -v37
	v_fma_f16 v36, v36, 2.0, -v39
	v_sub_nc_u16 v19, v10, v16
	v_mul_u32_u24_sdwa v16, v19, v24 dst_sel:DWORD dst_unused:UNUSED_PAD src0_sel:WORD_0 src1_sel:DWORD
	v_lshlrev_b32_e32 v16, 2, v16
	global_load_dwordx3 v[16:18], v16, s[8:9] offset:360
	s_waitcnt vmcnt(0)
	v_mul_f16_sdwa v24, v57, v16 dst_sel:DWORD dst_unused:UNUSED_PAD src0_sel:DWORD src1_sel:WORD_1
	v_fma_f16 v24, v40, v16, -v24
	v_mul_f16_sdwa v40, v40, v16 dst_sel:DWORD dst_unused:UNUSED_PAD src0_sel:DWORD src1_sel:WORD_1
	v_fmac_f16_e32 v40, v57, v16
	v_mul_f16_sdwa v16, v59, v17 dst_sel:DWORD dst_unused:UNUSED_PAD src0_sel:DWORD src1_sel:WORD_1
	v_fma_f16 v16, v49, v17, -v16
	v_mul_f16_sdwa v49, v49, v17 dst_sel:DWORD dst_unused:UNUSED_PAD src0_sel:DWORD src1_sel:WORD_1
	v_sub_f16_e32 v16, v43, v16
	v_fmac_f16_e32 v49, v59, v17
	s_waitcnt lgkmcnt(1)
	v_mul_f16_sdwa v17, v46, v18 dst_sel:DWORD dst_unused:UNUSED_PAD src0_sel:DWORD src1_sel:WORD_1
	v_fma_f16 v43, v43, 2.0, -v16
	s_waitcnt lgkmcnt(0)
	v_sub_f16_e32 v49, v47, v49
	v_fma_f16 v17, v54, v18, -v17
	v_mul_f16_sdwa v54, v54, v18 dst_sel:DWORD dst_unused:UNUSED_PAD src0_sel:DWORD src1_sel:WORD_1
	v_fma_f16 v47, v47, 2.0, -v49
	v_sub_f16_e32 v17, v24, v17
	v_fmac_f16_e32 v54, v46, v18
	v_sub_f16_e32 v18, v20, v30
	v_fma_f16 v30, v48, 2.0, -v27
	v_cndmask_b32_e64 v46, 0, 0x320, s0
	v_fma_f16 v24, v24, 2.0, -v17
	v_sub_f16_e32 v54, v40, v54
	v_fma_f16 v20, v20, 2.0, -v18
	v_add_f16_e32 v17, v49, v17
	v_add3_u32 v22, 0, v46, v22
	ds_read_u16 v46, v0
	ds_read_u16 v48, v0 offset:320
	ds_read_u16 v57, v0 offset:640
	s_waitcnt lgkmcnt(0)
	v_sub_f16_e32 v30, v20, v30
	s_barrier
	buffer_gl0_inv
	v_sub_f16_e32 v24, v43, v24
	v_fma_f16 v40, v40, 2.0, -v54
	v_fma_f16 v20, v20, 2.0, -v30
	v_sub_f16_e32 v54, v16, v54
	v_fma_f16 v49, v49, 2.0, -v17
	v_fma_f16 v43, v43, 2.0, -v24
	v_sub_f16_e32 v40, v47, v40
	ds_write_b16 v22, v20
	v_sub_f16_e32 v20, v58, v51
	v_fma_f16 v16, v16, 2.0, -v54
	v_fma_f16 v47, v47, 2.0, -v40
	;; [unrolled: 1-line block ×3, first 2 shown]
	v_sub_f16_e32 v20, v18, v20
	v_sub_f16_e32 v33, v57, v33
	v_fma_f16 v58, v62, 2.0, -v11
	v_fma_f16 v18, v18, 2.0, -v20
	;; [unrolled: 1-line block ×3, first 2 shown]
	v_sub_f16_e32 v58, v23, v58
	v_add_f16_e32 v11, v33, v11
	ds_write_b16 v22, v18 offset:200
	v_sub_f16_e32 v18, v46, v26
	v_sub_f16_e32 v26, v21, v32
	;; [unrolled: 1-line block ×4, first 2 shown]
	v_fma_f16 v23, v23, 2.0, -v58
	v_fma_f16 v46, v46, 2.0, -v18
	;; [unrolled: 1-line block ×3, first 2 shown]
	v_sub_f16_e32 v38, v26, v38
	v_fma_f16 v48, v48, 2.0, -v32
	v_add_f16_e32 v27, v18, v27
	v_sub_f16_e32 v51, v46, v51
	v_sub_f16_e32 v42, v21, v42
	v_fma_f16 v26, v26, 2.0, -v38
	v_sub_f16_e32 v29, v48, v29
	v_add_f16_e32 v44, v32, v44
	v_fma_f16 v46, v46, 2.0, -v51
	v_fma_f16 v21, v21, 2.0, -v42
	ds_write_b16 v22, v30 offset:400
	ds_write_b16 v22, v20 offset:600
	ds_write_b16 v2, v21
	ds_write_b16 v2, v26 offset:200
	v_mul_u32_u24_e32 v20, 0x320, v31
	v_lshlrev_b32_sdwa v21, v15, v53 dst_sel:DWORD dst_unused:UNUSED_PAD src0_sel:DWORD src1_sel:WORD_0
	v_lshlrev_b32_sdwa v15, v15, v19 dst_sel:DWORD dst_unused:UNUSED_PAD src0_sel:DWORD src1_sel:WORD_0
	v_fma_f16 v18, v18, 2.0, -v27
	v_fma_f16 v48, v48, 2.0, -v29
	;; [unrolled: 1-line block ×3, first 2 shown]
	v_add3_u32 v19, 0, v20, v21
	v_add3_u32 v12, 0, v12, v15
	v_fma_f16 v57, v57, 2.0, -v41
	v_fma_f16 v33, v33, 2.0, -v11
	ds_write_b16 v2, v42 offset:400
	ds_write_b16 v2, v38 offset:600
	ds_write_b16 v8, v23
	ds_write_b16 v8, v55 offset:200
	ds_write_b16 v8, v58 offset:400
	ds_write_b16 v8, v25 offset:600
	ds_write_b16 v19, v52
	ds_write_b16 v19, v45 offset:200
	;; [unrolled: 4-line block ×3, first 2 shown]
	ds_write_b16 v12, v24 offset:400
	ds_write_b16 v12, v54 offset:600
	s_waitcnt lgkmcnt(0)
	s_barrier
	buffer_gl0_inv
	ds_read_u16 v30, v0
	ds_read_u16 v31, v0 offset:320
	ds_read_u16 v34, v0 offset:640
	;; [unrolled: 1-line block ×19, first 2 shown]
	s_waitcnt lgkmcnt(0)
	s_barrier
	buffer_gl0_inv
	ds_write_b16 v22, v46
	ds_write_b16 v22, v18 offset:200
	ds_write_b16 v22, v51 offset:400
	ds_write_b16 v22, v27 offset:600
	ds_write_b16 v2, v48
	ds_write_b16 v2, v32 offset:200
	ds_write_b16 v2, v29 offset:400
	ds_write_b16 v2, v44 offset:600
	;; [unrolled: 4-line block ×3, first 2 shown]
	ds_write_b16 v19, v36
	ds_write_b16 v19, v35 offset:200
	ds_write_b16 v19, v39 offset:400
	v_mul_u32_u24_e32 v2, 3, v1
	ds_write_b16 v19, v56 offset:600
	ds_write_b16 v12, v47
	ds_write_b16 v12, v49 offset:200
	ds_write_b16 v12, v40 offset:400
	;; [unrolled: 1-line block ×3, first 2 shown]
	s_waitcnt lgkmcnt(0)
	s_barrier
	v_lshlrev_b32_e32 v2, 2, v2
	buffer_gl0_inv
	v_add_co_u32 v8, s0, s8, v2
	v_add_co_ci_u32_e64 v12, null, s9, 0, s0
	global_load_dwordx3 v[15:17], v2, s[8:9] offset:1560
	v_add_co_u32 v11, s0, 0x800, v8
	v_add_co_ci_u32_e64 v12, s0, 0, v12, s0
	v_add_nc_u32_e32 v8, 0xffffffb0, v1
	v_cmp_gt_u32_e64 s0, 0x50, v1
	global_load_dwordx3 v[18:20], v[11:12], off offset:1432
	v_cndmask_b32_e64 v32, v8, v28, s0
	v_mul_i32_i24_e32 v8, 3, v32
	v_lshlrev_b64 v[11:12], 2, v[8:9]
	v_add_nc_u32_e32 v8, 0x3c0, v2
	global_load_dwordx3 v[24:26], v8, s[8:9] offset:1560
	v_add_co_u32 v11, s0, s8, v11
	v_add_co_ci_u32_e64 v12, s0, s9, v12, s0
	v_add_nc_u32_e32 v2, 0xb40, v2
	v_cmp_lt_u32_e64 s0, 0x4f, v1
	s_clause 0x1
	global_load_dwordx3 v[21:23], v[11:12], off offset:1560
	global_load_dwordx3 v[27:29], v2, s[8:9] offset:1560
	ds_read_u16 v2, v14 offset:1600
	ds_read_u16 v8, v0 offset:3200
	;; [unrolled: 1-line block ×11, first 2 shown]
	s_waitcnt vmcnt(4) lgkmcnt(10)
	v_mul_f16_sdwa v36, v2, v15 dst_sel:DWORD dst_unused:UNUSED_PAD src0_sel:DWORD src1_sel:WORD_1
	v_mul_f16_sdwa v39, v62, v15 dst_sel:DWORD dst_unused:UNUSED_PAD src0_sel:DWORD src1_sel:WORD_1
	v_fma_f16 v36, v62, v15, -v36
	v_fmac_f16_e32 v39, v2, v15
	s_waitcnt lgkmcnt(9)
	v_mul_f16_sdwa v2, v8, v16 dst_sel:DWORD dst_unused:UNUSED_PAD src0_sel:DWORD src1_sel:WORD_1
	v_mul_f16_sdwa v15, v38, v16 dst_sel:DWORD dst_unused:UNUSED_PAD src0_sel:DWORD src1_sel:WORD_1
	s_waitcnt vmcnt(3) lgkmcnt(0)
	v_mul_f16_sdwa v49, v47, v18 dst_sel:DWORD dst_unused:UNUSED_PAD src0_sel:DWORD src1_sel:WORD_1
	v_mul_f16_sdwa v51, v55, v18 dst_sel:DWORD dst_unused:UNUSED_PAD src0_sel:DWORD src1_sel:WORD_1
	v_fma_f16 v2, v38, v16, -v2
	v_fmac_f16_e32 v15, v8, v16
	v_mul_f16_sdwa v8, v11, v17 dst_sel:DWORD dst_unused:UNUSED_PAD src0_sel:DWORD src1_sel:WORD_1
	v_mul_f16_sdwa v16, v60, v17 dst_sel:DWORD dst_unused:UNUSED_PAD src0_sel:DWORD src1_sel:WORD_1
	v_fma_f16 v49, v55, v18, -v49
	v_fmac_f16_e32 v51, v47, v18
	v_mul_f16_sdwa v18, v40, v19 dst_sel:DWORD dst_unused:UNUSED_PAD src0_sel:DWORD src1_sel:WORD_1
	v_fma_f16 v8, v60, v17, -v8
	v_fmac_f16_e32 v16, v11, v17
	ds_read_u16 v11, v0 offset:2240
	ds_read_u16 v17, v0 offset:2560
	;; [unrolled: 1-line block ×5, first 2 shown]
	v_fma_f16 v18, v42, v19, -v18
	v_mul_f16_sdwa v42, v42, v19 dst_sel:DWORD dst_unused:UNUSED_PAD src0_sel:DWORD src1_sel:WORD_1
	v_sub_f16_e32 v16, v39, v16
	v_sub_f16_e32 v8, v36, v8
	;; [unrolled: 1-line block ×4, first 2 shown]
	v_fmac_f16_e32 v42, v40, v19
	v_mul_f16_sdwa v19, v12, v20 dst_sel:DWORD dst_unused:UNUSED_PAD src0_sel:DWORD src1_sel:WORD_1
	v_mul_f16_sdwa v40, v59, v20 dst_sel:DWORD dst_unused:UNUSED_PAD src0_sel:DWORD src1_sel:WORD_1
	v_fma_f16 v36, v36, 2.0, -v8
	v_fma_f16 v30, v30, 2.0, -v2
	v_fma_f16 v19, v59, v20, -v19
	v_fmac_f16_e32 v40, v12, v20
	s_waitcnt vmcnt(1)
	v_mul_f16_sdwa v20, v54, v21 dst_sel:DWORD dst_unused:UNUSED_PAD src0_sel:DWORD src1_sel:WORD_1
	s_waitcnt lgkmcnt(4)
	v_mul_f16_sdwa v12, v11, v21 dst_sel:DWORD dst_unused:UNUSED_PAD src0_sel:DWORD src1_sel:WORD_1
	v_mul_f16_sdwa v55, v43, v22 dst_sel:DWORD dst_unused:UNUSED_PAD src0_sel:DWORD src1_sel:WORD_1
	v_sub_f16_e32 v19, v49, v19
	v_sub_f16_e32 v40, v51, v40
	v_fmac_f16_e32 v20, v11, v21
	v_fma_f16 v12, v54, v21, -v12
	v_mul_f16_sdwa v54, v41, v22 dst_sel:DWORD dst_unused:UNUSED_PAD src0_sel:DWORD src1_sel:WORD_1
	v_mul_f16_sdwa v11, v33, v23 dst_sel:DWORD dst_unused:UNUSED_PAD src0_sel:DWORD src1_sel:WORD_1
	v_fmac_f16_e32 v55, v41, v22
	v_mul_f16_sdwa v41, v52, v24 dst_sel:DWORD dst_unused:UNUSED_PAD src0_sel:DWORD src1_sel:WORD_1
	v_sub_f16_e32 v36, v30, v36
	v_fma_f16 v21, v43, v22, -v54
	v_mul_f16_sdwa v22, v37, v23 dst_sel:DWORD dst_unused:UNUSED_PAD src0_sel:DWORD src1_sel:WORD_1
	v_fma_f16 v11, v37, v23, -v11
	s_waitcnt lgkmcnt(3)
	v_mul_f16_sdwa v37, v17, v24 dst_sel:DWORD dst_unused:UNUSED_PAD src0_sel:DWORD src1_sel:WORD_1
	v_fmac_f16_e32 v41, v17, v24
	v_mul_f16_sdwa v17, v44, v25 dst_sel:DWORD dst_unused:UNUSED_PAD src0_sel:DWORD src1_sel:WORD_1
	v_fmac_f16_e32 v22, v33, v23
	ds_read_u16 v23, v0 offset:6080
	v_fma_f16 v33, v52, v24, -v37
	ds_read_u16 v52, v0
	v_mul_f16_sdwa v24, v45, v25 dst_sel:DWORD dst_unused:UNUSED_PAD src0_sel:DWORD src1_sel:WORD_1
	s_waitcnt lgkmcnt(2)
	v_mul_f16_sdwa v37, v47, v26 dst_sel:DWORD dst_unused:UNUSED_PAD src0_sel:DWORD src1_sel:WORD_1
	v_mul_f16_sdwa v43, v50, v26 dst_sel:DWORD dst_unused:UNUSED_PAD src0_sel:DWORD src1_sel:WORD_1
	v_fma_f16 v17, v45, v25, -v17
	s_waitcnt vmcnt(0)
	v_mul_f16_sdwa v45, v61, v28 dst_sel:DWORD dst_unused:UNUSED_PAD src0_sel:DWORD src1_sel:WORD_1
	v_fmac_f16_e32 v24, v44, v25
	v_fma_f16 v25, v50, v26, -v37
	v_fmac_f16_e32 v43, v47, v26
	ds_read_u16 v47, v0 offset:320
	ds_read_u16 v50, v0 offset:640
	v_mul_f16_sdwa v26, v38, v27 dst_sel:DWORD dst_unused:UNUSED_PAD src0_sel:DWORD src1_sel:WORD_1
	v_mul_f16_sdwa v37, v53, v27 dst_sel:DWORD dst_unused:UNUSED_PAD src0_sel:DWORD src1_sel:WORD_1
	;; [unrolled: 1-line block ×3, first 2 shown]
	v_fmac_f16_e32 v45, v46, v28
	v_fma_f16 v46, v51, 2.0, -v40
	v_fma_f16 v26, v53, v27, -v26
	v_fmac_f16_e32 v37, v38, v27
	v_fma_f16 v27, v61, v28, -v44
	s_waitcnt lgkmcnt(3)
	v_mul_f16_sdwa v28, v23, v29 dst_sel:DWORD dst_unused:UNUSED_PAD src0_sel:DWORD src1_sel:WORD_1
	v_mul_f16_sdwa v38, v64, v29 dst_sel:DWORD dst_unused:UNUSED_PAD src0_sel:DWORD src1_sel:WORD_1
	s_waitcnt lgkmcnt(2)
	v_sub_f16_e32 v15, v52, v15
	v_fma_f16 v44, v49, 2.0, -v19
	v_sub_f16_e32 v21, v34, v21
	v_fma_f16 v28, v64, v29, -v28
	v_fmac_f16_e32 v38, v23, v29
	v_fma_f16 v23, v52, 2.0, -v15
	v_fma_f16 v29, v39, 2.0, -v16
	v_add_f16_e32 v8, v15, v8
	s_waitcnt lgkmcnt(1)
	v_sub_f16_e32 v39, v47, v42
	v_sub_f16_e32 v11, v12, v11
	;; [unrolled: 1-line block ×4, first 2 shown]
	v_fma_f16 v29, v31, 2.0, -v18
	v_fma_f16 v31, v47, 2.0, -v39
	v_fma_f16 v49, v15, 2.0, -v8
	v_fma_f16 v12, v12, 2.0, -v11
	v_fma_f16 v47, v23, 2.0, -v42
	v_sub_f16_e32 v44, v29, v44
	v_sub_f16_e32 v46, v31, v46
	;; [unrolled: 1-line block ×3, first 2 shown]
	v_add_f16_e32 v40, v39, v19
	v_fma_f16 v20, v20, 2.0, -v22
	v_fma_f16 v15, v29, 2.0, -v44
	s_waitcnt lgkmcnt(0)
	v_sub_f16_e32 v29, v50, v55
	v_fma_f16 v51, v31, 2.0, -v46
	v_fma_f16 v31, v34, 2.0, -v21
	v_sub_f16_e32 v17, v63, v17
	v_sub_f16_e32 v22, v21, v22
	v_fma_f16 v19, v50, 2.0, -v29
	v_add_f16_e32 v11, v29, v11
	v_sub_f16_e32 v12, v31, v12
	v_sub_f16_e32 v34, v41, v43
	v_sub_f16_e32 v27, v58, v27
	v_sub_f16_e32 v50, v19, v20
	v_sub_f16_e32 v20, v33, v25
	v_fma_f16 v25, v31, 2.0, -v12
	v_fma_f16 v31, v63, 2.0, -v17
	;; [unrolled: 1-line block ×6, first 2 shown]
	v_sub_f16_e32 v29, v48, v45
	v_sub_f16_e32 v28, v26, v28
	v_sub_f16_e32 v24, v35, v24
	v_sub_f16_e32 v33, v31, v33
	v_sub_f16_e32 v16, v2, v16
	v_fma_f16 v45, v48, 2.0, -v29
	v_fma_f16 v26, v26, 2.0, -v28
	v_add_f16_e32 v48, v24, v20
	v_fma_f16 v21, v31, 2.0, -v33
	v_sub_f16_e32 v31, v37, v38
	v_fma_f16 v38, v58, 2.0, -v27
	v_add_f16_e32 v53, v29, v28
	v_fma_f16 v30, v30, 2.0, -v36
	v_fma_f16 v35, v35, 2.0, -v24
	;; [unrolled: 1-line block ×3, first 2 shown]
	v_sub_f16_e32 v20, v38, v26
	v_fma_f16 v41, v41, 2.0, -v34
	v_sub_f16_e32 v34, v17, v34
	v_sub_f16_e32 v26, v27, v31
	;; [unrolled: 1-line block ×3, first 2 shown]
	v_fma_f16 v54, v24, 2.0, -v48
	v_fma_f16 v24, v38, 2.0, -v20
	v_cndmask_b32_e64 v28, 0, 0xc80, s0
	v_fma_f16 v2, v2, 2.0, -v16
	v_fma_f16 v38, v45, 2.0, -v37
	v_fma_f16 v45, v29, 2.0, -v53
	v_lshlrev_b32_e32 v29, 1, v32
	v_fma_f16 v18, v18, 2.0, -v23
	v_fma_f16 v17, v17, 2.0, -v34
	;; [unrolled: 1-line block ×3, first 2 shown]
	s_barrier
	buffer_gl0_inv
	ds_write_b16 v0, v30
	ds_write_b16 v0, v2 offset:800
	ds_write_b16 v0, v36 offset:1600
	;; [unrolled: 1-line block ×3, first 2 shown]
	v_add3_u32 v2, 0, v28, v29
	ds_write_b16 v0, v15 offset:320
	ds_write_b16 v0, v18 offset:1120
	;; [unrolled: 1-line block ×4, first 2 shown]
	ds_write_b16 v2, v25
	ds_write_b16 v2, v19 offset:800
	ds_write_b16 v2, v12 offset:1600
	;; [unrolled: 1-line block ×11, first 2 shown]
	s_waitcnt lgkmcnt(0)
	s_barrier
	buffer_gl0_inv
	ds_read_u16 v25, v0 offset:3840
	ds_read_u16 v23, v0
	ds_read_u16 v22, v0 offset:320
	ds_read_u16 v20, v0 offset:640
	;; [unrolled: 1-line block ×16, first 2 shown]
	ds_read_u16 v15, v13
	ds_read_u16 v32, v0 offset:6080
	v_sub_f16_e32 v41, v35, v41
	v_fma_f16 v39, v39, 2.0, -v40
	s_waitcnt lgkmcnt(0)
	s_barrier
	buffer_gl0_inv
	v_fma_f16 v35, v35, 2.0, -v41
	ds_write_b16 v0, v47
	ds_write_b16 v0, v49 offset:800
	ds_write_b16 v0, v42 offset:1600
	;; [unrolled: 1-line block ×7, first 2 shown]
	ds_write_b16 v2, v43
	ds_write_b16 v2, v52 offset:800
	ds_write_b16 v2, v50 offset:1600
	;; [unrolled: 1-line block ×11, first 2 shown]
	s_waitcnt lgkmcnt(0)
	s_barrier
	buffer_gl0_inv
	s_and_saveexec_b32 s0, vcc_lo
	s_cbranch_execz .LBB0_15
; %bb.14:
	v_mov_b32_e32 v2, v9
	v_add_nc_u32_e32 v37, 0xa0, v1
	v_mul_hi_u32 v40, 0x51eb851f, v1
	v_mul_lo_u32 v38, s3, v6
	v_mul_lo_u32 v39, s2, v7
	v_lshlrev_b64 v[11:12], 2, v[1:2]
	v_mul_hi_u32 v43, 0x51eb851f, v37
	v_add_nc_u32_e32 v41, 0x140, v1
	v_mad_u64_u32 v[6:7], null, s2, v6, 0
	v_add_nc_u32_e32 v42, 0x1e0, v1
	v_add_co_u32 v2, vcc_lo, s8, v11
	v_add_co_ci_u32_e32 v35, vcc_lo, s9, v12, vcc_lo
	v_add_nc_u32_e32 v8, 0x5a0, v1
	v_add_co_u32 v11, vcc_lo, 0x1800, v2
	v_add_co_ci_u32_e32 v12, vcc_lo, 0, v35, vcc_lo
	v_add_nc_u32_e32 v45, 0x280, v1
	v_lshrrev_b32_e32 v40, 9, v40
	v_lshrrev_b32_e32 v48, 9, v43
	global_load_dword v36, v[11:12], off offset:216
	v_mul_hi_u32 v44, 0x51eb851f, v41
	v_mul_hi_u32 v47, 0x51eb851f, v42
	;; [unrolled: 1-line block ×3, first 2 shown]
	v_add3_u32 v7, v7, v39, v38
	v_lshlrev_b64 v[38:39], 2, v[8:9]
	v_mul_u32_u24_e32 v8, 0x640, v40
	v_mul_u32_u24_e32 v40, 0x640, v48
	ds_read_u16 v62, v0 offset:3520
	ds_read_u16 v63, v0 offset:3840
	ds_read_u16 v64, v0
	ds_read_u16 v65, v0 offset:320
	ds_read_u16 v66, v0 offset:640
	;; [unrolled: 1-line block ×5, first 2 shown]
	v_lshrrev_b32_e32 v49, 9, v44
	v_lshrrev_b32_e32 v47, 9, v47
	v_sub_nc_u32_e32 v37, v37, v40
	v_lshlrev_b64 v[6:7], 2, v[6:7]
	v_lshrrev_b32_e32 v50, 9, v43
	v_add_co_u32 v43, vcc_lo, 0x2000, v2
	v_add_co_ci_u32_e32 v44, vcc_lo, 0, v35, vcc_lo
	v_sub_nc_u32_e32 v2, v1, v8
	v_mul_u32_u24_e32 v35, 0x640, v49
	v_mad_u32_u24 v8, 0xc80, v48, v37
	v_mul_u32_u24_e32 v37, 0x640, v47
	v_lshlrev_b64 v[4:5], 2, v[4:5]
	v_add_co_u32 v40, vcc_lo, s14, v6
	v_add_co_ci_u32_e32 v48, vcc_lo, s15, v7, vcc_lo
	v_sub_nc_u32_e32 v35, v41, v35
	v_sub_nc_u32_e32 v42, v42, v37
	v_lshlrev_b64 v[6:7], 2, v[8:9]
	v_add_nc_u32_e32 v8, 0x640, v8
	v_add_co_u32 v70, vcc_lo, v40, v4
	global_load_dword v69, v[43:44], off offset:88
	v_lshlrev_b32_e32 v2, 2, v2
	v_add_co_ci_u32_e32 v71, vcc_lo, v48, v5, vcc_lo
	v_lshlrev_b64 v[4:5], 2, v[8:9]
	v_mad_u32_u24 v8, 0xc80, v49, v35
	v_add_co_u32 v40, vcc_lo, v70, v2
	v_add_co_ci_u32_e32 v41, vcc_lo, 0, v71, vcc_lo
	v_add_co_u32 v6, vcc_lo, v70, v6
	v_add_co_ci_u32_e32 v7, vcc_lo, v71, v7, vcc_lo
	v_mul_u32_u24_e32 v51, 0x640, v50
	s_waitcnt vmcnt(1)
	v_lshrrev_b32_e32 v37, 16, v36
	s_waitcnt lgkmcnt(1)
	v_mul_f16_e32 v35, v36, v46
	v_mul_f16_e32 v43, v37, v46
	v_fmac_f16_e32 v35, v34, v37
	v_sub_nc_u32_e32 v46, v45, v51
	v_fma_f16 v2, v34, v36, -v43
	v_sub_f16_e32 v72, v64, v35
	v_add_co_u32 v34, vcc_lo, 0x1800, v40
	v_add_co_ci_u32_e32 v35, vcc_lo, 0, v41, vcc_lo
	v_sub_f16_e32 v73, v23, v2
	v_add_co_u32 v36, vcc_lo, v70, v4
	v_add_co_ci_u32_e32 v37, vcc_lo, v71, v5, vcc_lo
	v_pack_b32_f16 v2, v73, v72
	v_fma_f16 v23, v23, 2.0, -v73
	global_store_dword v[34:35], v2, off offset:256
	v_lshlrev_b64 v[34:35], 2, v[8:9]
	v_add_nc_u32_e32 v8, 0x640, v8
	v_add_nc_u32_e32 v2, 0x320, v1
	v_lshlrev_b64 v[4:5], 2, v[8:9]
	v_mad_u32_u24 v8, 0xc80, v47, v42
	v_add_co_u32 v34, vcc_lo, v70, v34
	v_add_co_ci_u32_e32 v35, vcc_lo, v71, v35, vcc_lo
	v_add_co_u32 v42, vcc_lo, v70, v4
	v_add_co_ci_u32_e32 v43, vcc_lo, v71, v5, vcc_lo
	v_lshlrev_b64 v[4:5], 2, v[8:9]
	v_add_nc_u32_e32 v8, 0x640, v8
	v_lshlrev_b64 v[44:45], 2, v[8:9]
	v_mad_u32_u24 v8, 0xc80, v50, v46
	v_add_co_u32 v46, vcc_lo, v70, v4
	v_mul_hi_u32 v4, 0x51eb851f, v2
	v_add_co_ci_u32_e32 v47, vcc_lo, v71, v5, vcc_lo
	v_add_co_u32 v44, vcc_lo, v70, v44
	v_add_co_ci_u32_e32 v45, vcc_lo, v71, v45, vcc_lo
	v_lshrrev_b32_e32 v50, 9, v4
	v_mul_u32_u24_e32 v4, 0x640, v50
	v_sub_nc_u32_e32 v2, v2, v4
	v_lshlrev_b64 v[4:5], 2, v[8:9]
	v_add_nc_u32_e32 v8, 0x640, v8
	v_lshlrev_b64 v[48:49], 2, v[8:9]
	v_mad_u32_u24 v8, 0xc80, v50, v2
	v_add_nc_u32_e32 v2, 0x3c0, v1
	v_add_co_u32 v50, vcc_lo, v70, v4
	v_add_co_ci_u32_e32 v51, vcc_lo, v71, v5, vcc_lo
	v_mul_hi_u32 v4, 0x51eb851f, v2
	v_add_co_u32 v48, vcc_lo, v70, v48
	v_add_co_ci_u32_e32 v49, vcc_lo, v71, v49, vcc_lo
	v_lshrrev_b32_e32 v54, 9, v4
	v_mul_u32_u24_e32 v4, 0x640, v54
	v_sub_nc_u32_e32 v2, v2, v4
	v_lshlrev_b64 v[4:5], 2, v[8:9]
	v_add_nc_u32_e32 v8, 0x640, v8
	v_lshlrev_b64 v[52:53], 2, v[8:9]
	v_mad_u32_u24 v8, 0xc80, v54, v2
	v_add_nc_u32_e32 v2, 0x460, v1
	v_add_co_u32 v54, vcc_lo, v70, v4
	v_add_co_ci_u32_e32 v55, vcc_lo, v71, v5, vcc_lo
	v_mul_hi_u32 v4, 0x51eb851f, v2
	v_add_co_u32 v52, vcc_lo, v70, v52
	v_add_co_ci_u32_e32 v53, vcc_lo, v71, v53, vcc_lo
	v_lshrrev_b32_e32 v58, 9, v4
	v_mul_u32_u24_e32 v4, 0x640, v58
	v_sub_nc_u32_e32 v2, v2, v4
	v_lshlrev_b64 v[4:5], 2, v[8:9]
	v_add_nc_u32_e32 v8, 0x640, v8
	v_lshlrev_b64 v[56:57], 2, v[8:9]
	v_mad_u32_u24 v8, 0xc80, v58, v2
	s_clause 0x1
	global_load_dword v2, v[11:12], off offset:856
	global_load_dword v12, v[11:12], off offset:1496
	v_add_co_u32 v58, vcc_lo, v70, v4
	v_add_co_ci_u32_e32 v59, vcc_lo, v71, v5, vcc_lo
	v_lshlrev_b64 v[4:5], 2, v[8:9]
	v_add_co_u32 v56, vcc_lo, v70, v56
	v_add_co_ci_u32_e32 v57, vcc_lo, v71, v57, vcc_lo
	v_add_nc_u32_e32 v8, 0x640, v8
	v_add_co_u32 v60, vcc_lo, v70, v4
	v_add_co_ci_u32_e32 v61, vcc_lo, v71, v5, vcc_lo
	s_waitcnt vmcnt(1)
	v_lshrrev_b32_e32 v4, 16, v2
	v_mul_f16_e32 v74, v2, v62
	v_mul_f16_e32 v5, v4, v62
	v_fmac_f16_e32 v74, v33, v4
	v_mov_b32_e32 v4, v9
	v_fma_f16 v33, v33, v2, -v5
	v_add_co_u32 v5, vcc_lo, s8, v38
	v_lshlrev_b64 v[2:3], 2, v[3:4]
	v_add_co_ci_u32_e32 v11, vcc_lo, s9, v39, vcc_lo
	v_sub_f16_e32 v33, v22, v33
	v_add_co_u32 v4, vcc_lo, s8, v2
	v_add_co_ci_u32_e32 v38, vcc_lo, s9, v3, vcc_lo
	v_add_nc_u32_e32 v2, 0x460, v1
	v_mov_b32_e32 v3, v9
	v_fma_f16 v22, v22, 2.0, -v33
	v_lshlrev_b64 v[2:3], 2, v[2:3]
	v_add_co_u32 v39, vcc_lo, s8, v2
	v_add_co_ci_u32_e32 v62, vcc_lo, s9, v3, vcc_lo
	v_add_co_u32 v2, vcc_lo, 0x1800, v5
	v_add_co_ci_u32_e32 v3, vcc_lo, 0, v11, vcc_lo
	;; [unrolled: 2-line block ×3, first 2 shown]
	global_load_dword v38, v[2:3], off offset:216
	v_add_co_u32 v2, vcc_lo, 0x1800, v39
	v_add_co_ci_u32_e32 v3, vcc_lo, 0, v62, vcc_lo
	s_clause 0x1
	global_load_dword v39, v[4:5], off offset:216
	global_load_dword v62, v[2:3], off offset:216
	v_add_nc_u32_e32 v4, 0x3c0, v1
	v_mov_b32_e32 v5, v9
	v_add_nc_u32_e32 v2, 0x320, v1
	v_mov_b32_e32 v3, v9
	v_lshlrev_b64 v[4:5], 2, v[4:5]
	v_lshlrev_b64 v[2:3], 2, v[2:3]
	v_add_co_u32 v4, vcc_lo, s8, v4
	v_add_co_ci_u32_e32 v5, vcc_lo, s9, v5, vcc_lo
	v_add_co_u32 v11, vcc_lo, s8, v2
	v_add_co_ci_u32_e32 v75, vcc_lo, s9, v3, vcc_lo
	;; [unrolled: 2-line block ×4, first 2 shown]
	v_mov_b32_e32 v11, v9
	s_clause 0x1
	global_load_dword v75, v[2:3], off offset:216
	global_load_dword v4, v[4:5], off offset:216
	v_lshlrev_b64 v[2:3], 2, v[10:11]
	v_add_co_u32 v2, vcc_lo, s8, v2
	v_add_co_ci_u32_e32 v3, vcc_lo, s9, v3, vcc_lo
	v_add_co_u32 v2, vcc_lo, 0x1800, v2
	v_add_co_ci_u32_e32 v3, vcc_lo, 0, v3, vcc_lo
	global_load_dword v2, v[2:3], off offset:216
	ds_read_u16 v3, v13
	ds_read_u16 v5, v0 offset:6080
	ds_read_u16 v10, v0 offset:5760
	s_waitcnt vmcnt(5)
	v_lshrrev_b32_e32 v11, 16, v38
	s_waitcnt lgkmcnt(1)
	v_mul_f16_e32 v13, v38, v5
	v_mul_f16_e32 v5, v11, v5
	v_fmac_f16_e32 v13, v32, v11
	ds_read_u16 v11, v0 offset:5440
	v_fma_f16 v5, v32, v38, -v5
	s_waitcnt vmcnt(4)
	v_lshrrev_b32_e32 v32, 16, v39
	s_waitcnt lgkmcnt(1)
	v_mul_f16_e32 v38, v39, v10
	v_mul_f16_e32 v10, v32, v10
	v_fmac_f16_e32 v38, v31, v32
	s_waitcnt vmcnt(3)
	v_lshrrev_b32_e32 v32, 16, v62
	v_fma_f16 v10, v31, v39, -v10
	ds_read_u16 v31, v0 offset:5120
	v_sub_f16_e32 v10, v15, v10
	s_waitcnt lgkmcnt(1)
	v_mul_f16_e32 v39, v62, v11
	v_mul_f16_e32 v11, v32, v11
	v_fma_f16 v15, v15, 2.0, -v10
	v_fmac_f16_e32 v39, v30, v32
	v_fma_f16 v11, v30, v62, -v11
	ds_read_u16 v30, v0 offset:4800
	s_waitcnt vmcnt(2)
	v_lshrrev_b32_e32 v32, 16, v75
	v_sub_f16_e32 v11, v17, v11
	s_waitcnt lgkmcnt(1)
	v_mul_f16_e32 v62, v75, v31
	v_mul_f16_e32 v31, v32, v31
	v_fma_f16 v17, v17, 2.0, -v11
	v_fmac_f16_e32 v62, v29, v32
	ds_read_u16 v32, v0 offset:4480
	v_fma_f16 v29, v29, v75, -v31
	s_waitcnt vmcnt(1)
	v_lshrrev_b32_e32 v31, 16, v4
	ds_read_u16 v0, v0 offset:4160
	s_waitcnt lgkmcnt(2)
	v_mul_f16_e32 v75, v4, v30
	v_mul_f16_e32 v30, v31, v30
	v_sub_f16_e32 v29, v18, v29
	v_fmac_f16_e32 v75, v28, v31
	v_fma_f16 v4, v28, v4, -v30
	s_waitcnt vmcnt(0)
	v_lshrrev_b32_e32 v28, 16, v2
	v_fma_f16 v18, v18, 2.0, -v29
	v_sub_f16_e32 v4, v21, v4
	s_waitcnt lgkmcnt(1)
	v_mul_f16_e32 v30, v2, v32
	v_mul_f16_e32 v31, v28, v32
	v_sub_f16_e32 v32, v65, v74
	v_fma_f16 v21, v21, 2.0, -v4
	v_fmac_f16_e32 v30, v27, v28
	v_fma_f16 v2, v27, v2, -v31
	v_lshrrev_b32_e32 v27, 16, v69
	s_waitcnt lgkmcnt(0)
	v_mul_f16_e32 v28, v69, v0
	v_sub_f16_e32 v2, v19, v2
	v_mul_f16_e32 v0, v27, v0
	v_fmac_f16_e32 v28, v26, v27
	v_mul_f16_e32 v27, v12, v63
	v_fma_f16 v19, v19, 2.0, -v2
	v_fma_f16 v0, v26, v69, -v0
	v_lshrrev_b32_e32 v26, 16, v12
	v_sub_f16_e32 v0, v24, v0
	v_mul_f16_e32 v31, v26, v63
	v_fmac_f16_e32 v27, v25, v26
	v_add_nc_u32_e32 v26, 0x5a0, v1
	v_fma_f16 v63, v65, 2.0, -v32
	v_pack_b32_f16 v32, v33, v32
	v_fma_f16 v12, v25, v12, -v31
	v_add_nc_u32_e32 v25, 0x500, v1
	v_sub_f16_e32 v27, v66, v27
	v_fma_f16 v24, v24, 2.0, -v0
	v_pack_b32_f16 v22, v22, v63
	v_sub_f16_e32 v12, v20, v12
	v_mul_hi_u32 v1, 0x51eb851f, v25
	v_fma_f16 v33, v66, 2.0, -v27
	v_fma_f16 v20, v20, 2.0, -v12
	v_pack_b32_f16 v12, v12, v27
	v_lshrrev_b32_e32 v31, 9, v1
	v_pack_b32_f16 v20, v20, v33
	v_mul_u32_u24_e32 v1, 0x640, v31
	v_sub_nc_u32_e32 v25, v25, v1
	v_fma_f16 v1, v64, 2.0, -v72
	ds_read_u16 v27, v14 offset:960
	ds_read_u16 v64, v14 offset:1600
	;; [unrolled: 1-line block ×4, first 2 shown]
	v_pack_b32_f16 v1, v23, v1
	s_waitcnt lgkmcnt(3)
	v_sub_f16_e32 v28, v27, v28
	s_waitcnt lgkmcnt(0)
	v_sub_f16_e32 v13, v14, v13
	v_fma_f16 v27, v27, 2.0, -v28
	v_pack_b32_f16 v0, v0, v28
	v_sub_f16_e32 v28, v67, v30
	v_fma_f16 v14, v14, 2.0, -v13
	v_pack_b32_f16 v23, v24, v27
	v_sub_f16_e32 v24, v65, v39
	v_fma_f16 v30, v67, 2.0, -v28
	v_pack_b32_f16 v2, v2, v28
	v_sub_f16_e32 v28, v64, v75
	v_fma_f16 v27, v65, 2.0, -v24
	v_pack_b32_f16 v19, v19, v30
	v_sub_f16_e32 v30, v16, v5
	v_fma_f16 v64, v64, 2.0, -v28
	v_pack_b32_f16 v4, v4, v28
	v_pack_b32_f16 v17, v17, v27
	v_mul_hi_u32 v27, 0x51eb851f, v26
	v_sub_f16_e32 v28, v68, v62
	v_pack_b32_f16 v21, v21, v64
	global_store_dword v[40:41], v1, off
	global_store_dword v[6:7], v22, off
	;; [unrolled: 1-line block ×11, first 2 shown]
	v_lshlrev_b64 v[0:1], 2, v[8:9]
	v_mad_u32_u24 v8, 0xc80, v31, v25
	v_fma_f16 v62, v68, 2.0, -v28
	v_pack_b32_f16 v28, v29, v28
	v_lshrrev_b32_e32 v27, 9, v27
	v_sub_f16_e32 v29, v3, v38
	v_add_co_u32 v0, vcc_lo, v70, v0
	v_add_co_ci_u32_e32 v1, vcc_lo, v71, v1, vcc_lo
	v_mul_u32_u24_e32 v4, 0x640, v27
	v_fma_f16 v33, v3, 2.0, -v29
	v_lshlrev_b64 v[2:3], 2, v[8:9]
	v_add_nc_u32_e32 v8, 0x640, v8
	v_fma_f16 v16, v16, 2.0, -v30
	v_sub_nc_u32_e32 v6, v26, v4
	v_pack_b32_f16 v18, v18, v62
	v_pack_b32_f16 v11, v11, v24
	v_lshlrev_b64 v[4:5], 2, v[8:9]
	v_add_co_u32 v2, vcc_lo, v70, v2
	v_mad_u32_u24 v8, 0xc80, v27, v6
	v_add_co_ci_u32_e32 v3, vcc_lo, v71, v3, vcc_lo
	v_add_co_u32 v4, vcc_lo, v70, v4
	v_lshlrev_b64 v[6:7], 2, v[8:9]
	v_add_nc_u32_e32 v8, 0x640, v8
	v_add_co_ci_u32_e32 v5, vcc_lo, v71, v5, vcc_lo
	v_pack_b32_f16 v12, v15, v33
	v_pack_b32_f16 v10, v10, v29
	v_lshlrev_b64 v[8:9], 2, v[8:9]
	v_add_co_u32 v6, vcc_lo, v70, v6
	v_add_co_ci_u32_e32 v7, vcc_lo, v71, v7, vcc_lo
	v_pack_b32_f16 v14, v16, v14
	v_add_co_u32 v8, vcc_lo, v70, v8
	v_add_co_ci_u32_e32 v9, vcc_lo, v71, v9, vcc_lo
	v_pack_b32_f16 v13, v30, v13
	global_store_dword v[58:59], v18, off
	global_store_dword v[56:57], v28, off
	;; [unrolled: 1-line block ×8, first 2 shown]
.LBB0_15:
	s_endpgm
	.section	.rodata,"a",@progbits
	.p2align	6, 0x0
	.amdhsa_kernel fft_rtc_fwd_len3200_factors_10_10_4_4_2_wgs_160_tpt_160_halfLds_half_op_CI_CI_unitstride_sbrr_dirReg
		.amdhsa_group_segment_fixed_size 0
		.amdhsa_private_segment_fixed_size 0
		.amdhsa_kernarg_size 104
		.amdhsa_user_sgpr_count 6
		.amdhsa_user_sgpr_private_segment_buffer 1
		.amdhsa_user_sgpr_dispatch_ptr 0
		.amdhsa_user_sgpr_queue_ptr 0
		.amdhsa_user_sgpr_kernarg_segment_ptr 1
		.amdhsa_user_sgpr_dispatch_id 0
		.amdhsa_user_sgpr_flat_scratch_init 0
		.amdhsa_user_sgpr_private_segment_size 0
		.amdhsa_wavefront_size32 1
		.amdhsa_uses_dynamic_stack 0
		.amdhsa_system_sgpr_private_segment_wavefront_offset 0
		.amdhsa_system_sgpr_workgroup_id_x 1
		.amdhsa_system_sgpr_workgroup_id_y 0
		.amdhsa_system_sgpr_workgroup_id_z 0
		.amdhsa_system_sgpr_workgroup_info 0
		.amdhsa_system_vgpr_workitem_id 0
		.amdhsa_next_free_vgpr 76
		.amdhsa_next_free_sgpr 27
		.amdhsa_reserve_vcc 1
		.amdhsa_reserve_flat_scratch 0
		.amdhsa_float_round_mode_32 0
		.amdhsa_float_round_mode_16_64 0
		.amdhsa_float_denorm_mode_32 3
		.amdhsa_float_denorm_mode_16_64 3
		.amdhsa_dx10_clamp 1
		.amdhsa_ieee_mode 1
		.amdhsa_fp16_overflow 0
		.amdhsa_workgroup_processor_mode 1
		.amdhsa_memory_ordered 1
		.amdhsa_forward_progress 0
		.amdhsa_shared_vgpr_count 0
		.amdhsa_exception_fp_ieee_invalid_op 0
		.amdhsa_exception_fp_denorm_src 0
		.amdhsa_exception_fp_ieee_div_zero 0
		.amdhsa_exception_fp_ieee_overflow 0
		.amdhsa_exception_fp_ieee_underflow 0
		.amdhsa_exception_fp_ieee_inexact 0
		.amdhsa_exception_int_div_zero 0
	.end_amdhsa_kernel
	.text
.Lfunc_end0:
	.size	fft_rtc_fwd_len3200_factors_10_10_4_4_2_wgs_160_tpt_160_halfLds_half_op_CI_CI_unitstride_sbrr_dirReg, .Lfunc_end0-fft_rtc_fwd_len3200_factors_10_10_4_4_2_wgs_160_tpt_160_halfLds_half_op_CI_CI_unitstride_sbrr_dirReg
                                        ; -- End function
	.section	.AMDGPU.csdata,"",@progbits
; Kernel info:
; codeLenInByte = 13836
; NumSgprs: 29
; NumVgprs: 76
; ScratchSize: 0
; MemoryBound: 0
; FloatMode: 240
; IeeeMode: 1
; LDSByteSize: 0 bytes/workgroup (compile time only)
; SGPRBlocks: 3
; VGPRBlocks: 9
; NumSGPRsForWavesPerEU: 29
; NumVGPRsForWavesPerEU: 76
; Occupancy: 12
; WaveLimiterHint : 1
; COMPUTE_PGM_RSRC2:SCRATCH_EN: 0
; COMPUTE_PGM_RSRC2:USER_SGPR: 6
; COMPUTE_PGM_RSRC2:TRAP_HANDLER: 0
; COMPUTE_PGM_RSRC2:TGID_X_EN: 1
; COMPUTE_PGM_RSRC2:TGID_Y_EN: 0
; COMPUTE_PGM_RSRC2:TGID_Z_EN: 0
; COMPUTE_PGM_RSRC2:TIDIG_COMP_CNT: 0
	.text
	.p2alignl 6, 3214868480
	.fill 48, 4, 3214868480
	.type	__hip_cuid_294f1bad05fcfe82,@object ; @__hip_cuid_294f1bad05fcfe82
	.section	.bss,"aw",@nobits
	.globl	__hip_cuid_294f1bad05fcfe82
__hip_cuid_294f1bad05fcfe82:
	.byte	0                               ; 0x0
	.size	__hip_cuid_294f1bad05fcfe82, 1

	.ident	"AMD clang version 19.0.0git (https://github.com/RadeonOpenCompute/llvm-project roc-6.4.0 25133 c7fe45cf4b819c5991fe208aaa96edf142730f1d)"
	.section	".note.GNU-stack","",@progbits
	.addrsig
	.addrsig_sym __hip_cuid_294f1bad05fcfe82
	.amdgpu_metadata
---
amdhsa.kernels:
  - .args:
      - .actual_access:  read_only
        .address_space:  global
        .offset:         0
        .size:           8
        .value_kind:     global_buffer
      - .offset:         8
        .size:           8
        .value_kind:     by_value
      - .actual_access:  read_only
        .address_space:  global
        .offset:         16
        .size:           8
        .value_kind:     global_buffer
      - .actual_access:  read_only
        .address_space:  global
        .offset:         24
        .size:           8
        .value_kind:     global_buffer
      - .actual_access:  read_only
        .address_space:  global
        .offset:         32
        .size:           8
        .value_kind:     global_buffer
      - .offset:         40
        .size:           8
        .value_kind:     by_value
      - .actual_access:  read_only
        .address_space:  global
        .offset:         48
        .size:           8
        .value_kind:     global_buffer
      - .actual_access:  read_only
        .address_space:  global
        .offset:         56
        .size:           8
        .value_kind:     global_buffer
      - .offset:         64
        .size:           4
        .value_kind:     by_value
      - .actual_access:  read_only
        .address_space:  global
        .offset:         72
        .size:           8
        .value_kind:     global_buffer
      - .actual_access:  read_only
        .address_space:  global
        .offset:         80
        .size:           8
        .value_kind:     global_buffer
      - .actual_access:  read_only
        .address_space:  global
        .offset:         88
        .size:           8
        .value_kind:     global_buffer
      - .actual_access:  write_only
        .address_space:  global
        .offset:         96
        .size:           8
        .value_kind:     global_buffer
    .group_segment_fixed_size: 0
    .kernarg_segment_align: 8
    .kernarg_segment_size: 104
    .language:       OpenCL C
    .language_version:
      - 2
      - 0
    .max_flat_workgroup_size: 160
    .name:           fft_rtc_fwd_len3200_factors_10_10_4_4_2_wgs_160_tpt_160_halfLds_half_op_CI_CI_unitstride_sbrr_dirReg
    .private_segment_fixed_size: 0
    .sgpr_count:     29
    .sgpr_spill_count: 0
    .symbol:         fft_rtc_fwd_len3200_factors_10_10_4_4_2_wgs_160_tpt_160_halfLds_half_op_CI_CI_unitstride_sbrr_dirReg.kd
    .uniform_work_group_size: 1
    .uses_dynamic_stack: false
    .vgpr_count:     76
    .vgpr_spill_count: 0
    .wavefront_size: 32
    .workgroup_processor_mode: 1
amdhsa.target:   amdgcn-amd-amdhsa--gfx1030
amdhsa.version:
  - 1
  - 2
...

	.end_amdgpu_metadata
